;; amdgpu-corpus repo=ROCm/rocFFT kind=compiled arch=gfx1201 opt=O3
	.text
	.amdgcn_target "amdgcn-amd-amdhsa--gfx1201"
	.amdhsa_code_object_version 6
	.protected	bluestein_single_fwd_len156_dim1_sp_op_CI_CI ; -- Begin function bluestein_single_fwd_len156_dim1_sp_op_CI_CI
	.globl	bluestein_single_fwd_len156_dim1_sp_op_CI_CI
	.p2align	8
	.type	bluestein_single_fwd_len156_dim1_sp_op_CI_CI,@function
bluestein_single_fwd_len156_dim1_sp_op_CI_CI: ; @bluestein_single_fwd_len156_dim1_sp_op_CI_CI
; %bb.0:
	s_load_b128 s[12:15], s[0:1], 0x28
	v_mul_u32_u24_e32 v1, 0x13b2, v0
	s_mov_b32 s2, exec_lo
	s_delay_alu instid0(VALU_DEP_1) | instskip(NEXT) | instid1(VALU_DEP_1)
	v_lshrrev_b32_e32 v1, 16, v1
	v_mad_co_u64_u32 v[60:61], null, ttmp9, 9, v[1:2]
	v_mov_b32_e32 v61, 0
                                        ; kill: def $vgpr2 killed $sgpr0 killed $exec
	s_wait_kmcnt 0x0
	s_delay_alu instid0(VALU_DEP_1)
	v_cmpx_gt_u64_e64 s[12:13], v[60:61]
	s_cbranch_execz .LBB0_10
; %bb.1:
	s_clause 0x1
	s_load_b128 s[4:7], s[0:1], 0x18
	s_load_b128 s[8:11], s[0:1], 0x0
	v_mul_lo_u16 v1, v1, 13
	s_movk_i32 s2, 0xfd28
	s_mov_b32 s3, -1
	v_mul_hi_u32 v26, 0x38e38e39, v60
                                        ; implicit-def: $vgpr93
	s_delay_alu instid0(VALU_DEP_2) | instskip(NEXT) | instid1(VALU_DEP_1)
	v_sub_nc_u16 v12, v0, v1
	v_and_b32_e32 v95, 0xffff, v12
	s_delay_alu instid0(VALU_DEP_3) | instskip(SKIP_2) | instid1(VALU_DEP_4)
	v_lshrrev_b32_e32 v26, 1, v26
	v_mul_lo_u16 v27, v12, 3
	v_and_b32_e32 v28, 0xff, v12
	v_add_co_u32 v30, null, v95, 13
	v_lshlrev_b32_e32 v13, 3, v95
	s_wait_kmcnt 0x0
	s_load_b128 s[16:19], s[4:5], 0x0
	s_clause 0x9
	global_load_b64 v[61:62], v13, s[8:9] offset:416
	global_load_b64 v[63:64], v13, s[8:9] offset:520
	;; [unrolled: 1-line block ×6, first 2 shown]
	global_load_b64 v[83:84], v13, s[8:9]
	global_load_b64 v[77:78], v13, s[8:9] offset:104
	global_load_b64 v[73:74], v13, s[8:9] offset:208
	global_load_b64 v[75:76], v13, s[8:9] offset:312
	v_lshl_add_u32 v26, v26, 3, v26
	v_mul_u32_u24_e32 v32, 3, v30
	v_mul_lo_u16 v28, 0xab, v28
	s_delay_alu instid0(VALU_DEP_3) | instskip(NEXT) | instid1(VALU_DEP_2)
	v_sub_nc_u32_e32 v26, v60, v26
	v_lshrrev_b16 v33, 9, v28
	v_and_b32_e32 v28, 0xff, v30
	s_delay_alu instid0(VALU_DEP_3) | instskip(NEXT) | instid1(VALU_DEP_3)
	v_mul_u32_u24_e32 v26, 0x9c, v26
	v_mul_lo_u16 v36, v33, 3
	s_wait_kmcnt 0x0
	v_mad_co_u64_u32 v[0:1], null, s18, v60, 0
	v_mad_co_u64_u32 v[2:3], null, s16, v95, 0
	s_mul_u64 s[4:5], s[16:17], 0x1a0
	s_mul_u64 s[2:3], s[16:17], s[2:3]
	v_mul_lo_u16 v28, 0xab, v28
	v_sub_nc_u16 v36, v12, v36
	s_delay_alu instid0(VALU_DEP_3) | instskip(NEXT) | instid1(VALU_DEP_3)
	v_mad_co_u64_u32 v[4:5], null, s19, v60, v[1:2]
	v_lshrrev_b16 v38, 9, v28
	s_delay_alu instid0(VALU_DEP_2) | instskip(SKIP_1) | instid1(VALU_DEP_1)
	v_mad_co_u64_u32 v[5:6], null, s17, v95, v[3:4]
	v_mov_b32_e32 v1, v4
	v_lshlrev_b64_e32 v[0:1], 3, v[0:1]
	s_delay_alu instid0(VALU_DEP_3) | instskip(NEXT) | instid1(VALU_DEP_1)
	v_mov_b32_e32 v3, v5
	v_lshlrev_b64_e32 v[2:3], 3, v[2:3]
	s_delay_alu instid0(VALU_DEP_3) | instskip(NEXT) | instid1(VALU_DEP_4)
	v_add_co_u32 v0, vcc_lo, s14, v0
	v_add_co_ci_u32_e32 v1, vcc_lo, s15, v1, vcc_lo
	s_delay_alu instid0(VALU_DEP_2) | instskip(SKIP_1) | instid1(VALU_DEP_2)
	v_add_co_u32 v0, vcc_lo, v0, v2
	s_wait_alu 0xfffd
	v_add_co_ci_u32_e32 v1, vcc_lo, v1, v3, vcc_lo
	s_delay_alu instid0(VALU_DEP_2) | instskip(SKIP_1) | instid1(VALU_DEP_2)
	v_add_co_u32 v2, vcc_lo, v0, s4
	s_wait_alu 0xfffd
	v_add_co_ci_u32_e32 v3, vcc_lo, s5, v1, vcc_lo
	global_load_b64 v[0:1], v[0:1], off
	v_add_co_u32 v4, vcc_lo, v2, s4
	s_wait_alu 0xfffd
	v_add_co_ci_u32_e32 v5, vcc_lo, s5, v3, vcc_lo
	global_load_b64 v[2:3], v[2:3], off
	;; [unrolled: 4-line block ×3, first 2 shown]
	v_add_co_u32 v8, vcc_lo, v6, s4
	s_wait_alu 0xfffd
	v_add_co_ci_u32_e32 v9, vcc_lo, s5, v7, vcc_lo
	v_lshlrev_b32_e32 v97, 3, v26
	s_delay_alu instid0(VALU_DEP_3) | instskip(SKIP_1) | instid1(VALU_DEP_3)
	v_add_co_u32 v10, vcc_lo, v8, s4
	s_wait_alu 0xfffd
	v_add_co_ci_u32_e32 v11, vcc_lo, s5, v9, vcc_lo
	s_clause 0x1
	global_load_b64 v[6:7], v[6:7], off
	global_load_b64 v[8:9], v[8:9], off
	v_add_co_u32 v14, vcc_lo, v10, s2
	s_wait_alu 0xfffd
	v_add_co_ci_u32_e32 v15, vcc_lo, s3, v11, vcc_lo
	global_load_b64 v[10:11], v[10:11], off
	v_add_co_u32 v16, vcc_lo, v14, s4
	s_wait_alu 0xfffd
	v_add_co_ci_u32_e32 v17, vcc_lo, s5, v15, vcc_lo
	;; [unrolled: 4-line block ×6, first 2 shown]
	v_and_b32_e32 v27, 0xffff, v27
	v_cmp_gt_u16_e32 vcc_lo, 12, v12
	s_wait_loadcnt 0x9
	v_mul_f32_e32 v26, v1, v84
	global_load_b64 v[81:82], v13, s[8:9] offset:728
	global_load_b64 v[22:23], v[22:23], off
	global_load_b64 v[79:80], v13, s[8:9] offset:1144
	global_load_b64 v[24:25], v[24:25], off
	s_load_b128 s[4:7], s[6:7], 0x0
	s_wait_loadcnt 0xc
	v_mul_f32_e32 v28, v3, v62
	v_add_co_u32 v31, null, v95, 26
	v_fmac_f32_e32 v26, v0, v83
	v_lshl_add_u32 v100, v27, 3, v97
	v_mul_f32_e32 v27, v0, v84
	s_wait_loadcnt 0xb
	v_mul_f32_e32 v0, v5, v72
	v_and_b32_e32 v34, 0xff, v31
	v_dual_fmac_f32 v28, v2, v61 :: v_dual_add_nc_u32 v29, 39, v95
	v_add_nc_u32_e32 v96, v13, v97
	v_fma_f32 v27, v1, v83, -v27
	v_dual_mul_f32 v1, v2, v62 :: v_dual_mul_f32 v40, v4, v72
	s_wait_loadcnt 0xa
	v_mul_f32_e32 v41, v6, v78
	v_mul_lo_u16 v34, 0xab, v34
	v_mul_u32_u24_e32 v37, 3, v29
	v_mul_f32_e32 v2, v7, v78
	v_fma_f32 v29, v3, v61, -v1
	v_fmac_f32_e32 v0, v4, v71
	v_fma_f32 v1, v5, v71, -v40
	v_lshrrev_b16 v34, 9, v34
	v_fma_f32 v3, v7, v77, -v41
	ds_store_b64 v96, v[28:29] offset:416
	ds_store_b64 v96, v[0:1] offset:832
	s_wait_loadcnt 0x9
	v_dual_mul_f32 v1, v8, v64 :: v_dual_fmac_f32 v2, v6, v77
	v_mul_lo_u16 v39, v34, 3
	s_wait_loadcnt 0x7
	v_dual_mul_f32 v4, v9, v64 :: v_dual_mul_f32 v7, v14, v74
	v_mul_f32_e32 v0, v11, v68
	ds_store_2addr_b64 v96, v[26:27], v[2:3] offset1:13
	v_dual_mul_f32 v3, v10, v68 :: v_dual_mul_f32 v2, v15, v74
	v_fma_f32 v5, v9, v63, -v1
	v_sub_nc_u16 v29, v31, v39
	s_wait_loadcnt 0x6
	v_mul_f32_e32 v6, v17, v66
	v_fma_f32 v1, v11, v67, -v3
	v_fma_f32 v3, v15, v73, -v7
	v_mul_f32_e32 v7, v16, v66
	v_dual_fmac_f32 v4, v8, v63 :: v_dual_and_b32 v29, 0xff, v29
	s_wait_loadcnt 0x5
	v_mul_f32_e32 v9, v18, v70
	s_wait_loadcnt 0x4
	v_dual_mul_f32 v8, v19, v70 :: v_dual_mul_f32 v11, v20, v76
	v_fmac_f32_e32 v2, v14, v73
	v_fmac_f32_e32 v6, v16, v65
	v_fma_f32 v7, v17, v65, -v7
	v_lshl_add_u32 v99, v32, 3, v97
	v_mul_lo_u16 v32, v36, 24
	v_fmac_f32_e32 v8, v18, v69
	v_fma_f32 v9, v19, v69, -v9
	v_fma_f32 v11, v21, v75, -v11
	v_mul_u32_u24_e32 v35, 3, v31
	v_lshl_add_u32 v102, v37, 3, v97
	s_delay_alu instid0(VALU_DEP_2) | instskip(SKIP_1) | instid1(VALU_DEP_1)
	v_lshl_add_u32 v98, v35, 3, v97
	v_mul_lo_u16 v35, v38, 3
	v_sub_nc_u16 v28, v30, v35
	s_delay_alu instid0(VALU_DEP_1)
	v_mul_lo_u16 v30, v28, 24
	s_wait_loadcnt 0x2
	v_mul_f32_e32 v15, v22, v82
	s_wait_loadcnt 0x0
	v_dual_fmac_f32 v0, v10, v67 :: v_dual_mul_f32 v17, v24, v80
	v_mul_f32_e32 v10, v21, v76
	v_mul_f32_e32 v14, v23, v82
	;; [unrolled: 1-line block ×3, first 2 shown]
	v_fma_f32 v15, v23, v81, -v15
	v_fma_f32 v17, v25, v79, -v17
	v_fmac_f32_e32 v10, v20, v75
	v_fmac_f32_e32 v14, v22, v81
	v_fmac_f32_e32 v16, v24, v79
	ds_store_2addr_b64 v96, v[4:5], v[6:7] offset0:65 offset1:78
	ds_store_2addr_b64 v96, v[0:1], v[8:9] offset0:117 offset1:130
	;; [unrolled: 1-line block ×3, first 2 shown]
	ds_store_b64 v96, v[14:15] offset:728
	ds_store_b64 v96, v[16:17] offset:1144
	global_wb scope:SCOPE_SE
	s_wait_dscnt 0x0
	s_wait_kmcnt 0x0
	s_barrier_signal -1
	s_barrier_wait -1
	global_inv scope:SCOPE_SE
	ds_load_2addr_b64 v[0:3], v96 offset1:13
	ds_load_2addr_b64 v[4:7], v96 offset0:52 offset1:65
	ds_load_2addr_b64 v[8:11], v96 offset0:104 offset1:117
	v_and_b32_e32 v14, 0xf8, v32
	s_delay_alu instid0(VALU_DEP_1)
	v_add_co_u32 v26, s2, s10, v14
	ds_load_2addr_b64 v[14:17], v96 offset0:26 offset1:39
	ds_load_2addr_b64 v[18:21], v96 offset0:78 offset1:91
	;; [unrolled: 1-line block ×3, first 2 shown]
	v_and_b32_e32 v30, 0xf8, v30
	s_wait_alu 0xf1ff
	v_add_co_ci_u32_e64 v27, null, s11, 0, s2
	global_wb scope:SCOPE_SE
	s_wait_dscnt 0x0
	s_barrier_signal -1
	s_barrier_wait -1
	global_inv scope:SCOPE_SE
	v_add_f32_e32 v37, v1, v5
	v_dual_add_f32 v39, v5, v9 :: v_dual_add_f32 v32, v4, v8
	v_dual_sub_f32 v35, v5, v9 :: v_dual_sub_f32 v40, v4, v8
	s_delay_alu instid0(VALU_DEP_3)
	v_add_f32_e32 v5, v37, v9
	v_add_f32_e32 v45, v7, v11
	;; [unrolled: 1-line block ×3, first 2 shown]
	v_fma_f32 v1, -0.5, v39, v1
	v_dual_sub_f32 v49, v19, v23 :: v_dual_add_f32 v54, v17, v21
	v_add_f32_e32 v50, v15, v19
	v_dual_add_f32 v19, v19, v23 :: v_dual_add_f32 v42, v6, v10
	v_sub_f32_e32 v55, v20, v24
	v_add_f32_e32 v41, v2, v6
	v_sub_f32_e32 v53, v21, v25
	v_dual_add_f32 v21, v21, v25 :: v_dual_add_f32 v48, v18, v22
	v_add_f32_e32 v31, v0, v4
	v_sub_f32_e32 v43, v7, v11
	v_add_f32_e32 v47, v14, v18
	s_delay_alu instid0(VALU_DEP_4)
	v_fmac_f32_e32 v17, -0.5, v21
	v_sub_f32_e32 v51, v18, v22
	v_fma_f32 v0, -0.5, v32, v0
	v_dual_fmac_f32 v3, -0.5, v45 :: v_dual_sub_f32 v46, v6, v10
	v_add_f32_e32 v7, v44, v11
	v_add_f32_e32 v52, v20, v24
	v_fma_f32 v11, -0.5, v19, v15
	v_fmamk_f32 v19, v40, 0xbf5db3d7, v1
	v_fmamk_f32 v21, v46, 0xbf5db3d7, v3
	v_dual_add_f32 v15, v54, v25 :: v_dual_add_f32 v18, v16, v20
	v_add_f32_e32 v9, v50, v23
	v_fma_f32 v2, -0.5, v42, v2
	v_dual_add_f32 v6, v41, v10 :: v_dual_fmac_f32 v1, 0x3f5db3d7, v40
	v_fma_f32 v10, -0.5, v48, v14
	v_dual_add_f32 v4, v31, v8 :: v_dual_fmac_f32 v3, 0x3f5db3d7, v46
	v_dual_add_f32 v14, v18, v24 :: v_dual_fmamk_f32 v23, v51, 0xbf5db3d7, v11
	v_fma_f32 v16, -0.5, v52, v16
	v_fmamk_f32 v18, v35, 0x3f5db3d7, v0
	v_dual_fmac_f32 v0, 0xbf5db3d7, v35 :: v_dual_fmamk_f32 v25, v55, 0xbf5db3d7, v17
	v_fmamk_f32 v20, v43, 0x3f5db3d7, v2
	v_fmac_f32_e32 v2, 0xbf5db3d7, v43
	v_dual_add_f32 v8, v47, v22 :: v_dual_fmac_f32 v11, 0x3f5db3d7, v51
	v_fmamk_f32 v22, v49, 0x3f5db3d7, v10
	v_fmac_f32_e32 v10, 0xbf5db3d7, v49
	v_fmamk_f32 v24, v53, 0x3f5db3d7, v16
	v_fmac_f32_e32 v16, 0xbf5db3d7, v53
	v_fmac_f32_e32 v17, 0x3f5db3d7, v55
	ds_store_2addr_b64 v100, v[4:5], v[18:19] offset1:1
	ds_store_b64 v100, v[0:1] offset:16
	ds_store_2addr_b64 v99, v[6:7], v[20:21] offset1:1
	ds_store_b64 v99, v[2:3] offset:16
	ds_store_2addr_b64 v98, v[8:9], v[22:23] offset1:1
	ds_store_b64 v98, v[10:11] offset:16
	ds_store_2addr_b64 v102, v[14:15], v[24:25] offset1:1
	ds_store_b64 v102, v[16:17] offset:16
	v_add_co_u32 v0, s2, s10, v30
	v_mad_co_u64_u32 v[14:15], null, v29, 24, s[10:11]
	s_wait_alu 0xf1ff
	v_add_co_ci_u32_e64 v1, null, s11, 0, s2
	global_wb scope:SCOPE_SE
	s_wait_dscnt 0x0
	s_barrier_signal -1
	s_barrier_wait -1
	global_inv scope:SCOPE_SE
	s_clause 0x5
	global_load_b128 v[8:11], v[26:27], off
	global_load_b64 v[89:90], v[26:27], off offset:16
	global_load_b128 v[4:7], v[0:1], off
	global_load_b64 v[87:88], v[0:1], off offset:16
	;; [unrolled: 2-line block ×3, first 2 shown]
	v_mul_lo_u16 v14, v33, 12
	v_and_b32_e32 v16, 0xffff, v34
	v_mul_lo_u16 v15, v38, 12
	ds_load_2addr_b64 v[22:25], v96 offset0:104 offset1:117
	s_load_b64 s[2:3], s[0:1], 0x38
	v_or_b32_e32 v18, v14, v36
	v_mul_u32_u24_e32 v26, 12, v16
	v_or_b32_e32 v12, v15, v28
	ds_load_2addr_b64 v[14:17], v96 offset0:26 offset1:39
	v_add_co_u32 v91, s0, s8, v13
	v_and_b32_e32 v34, 0xff, v18
	ds_load_2addr_b64 v[18:21], v96 offset0:78 offset1:91
	v_or_b32_e32 v35, v26, v29
	ds_load_2addr_b64 v[26:29], v96 offset0:52 offset1:65
	ds_load_2addr_b64 v[30:33], v96 offset0:130 offset1:143
	v_and_b32_e32 v12, 0xff, v12
	s_wait_alu 0xf1ff
	v_add_co_ci_u32_e64 v92, null, s9, 0, s0
	v_lshl_add_u32 v101, v35, 3, v97
	s_wait_loadcnt_dscnt 0x302
	v_mul_f32_e32 v43, v21, v7
	v_mul_f32_e32 v13, v16, v9
	s_wait_loadcnt 0x1
	v_mul_f32_e32 v51, v22, v3
	s_wait_loadcnt_dscnt 0x0
	v_mul_f32_e32 v53, v32, v86
	v_lshl_add_u32 v104, v34, 3, v97
	ds_load_2addr_b64 v[34:37], v96 offset1:13
	v_lshl_add_u32 v103, v12, 3, v97
	v_dual_mul_f32 v39, v18, v11 :: v_dual_mul_f32 v12, v17, v9
	v_dual_mul_f32 v47, v30, v88 :: v_dual_mul_f32 v40, v25, v90
	v_dual_mul_f32 v38, v19, v11 :: v_dual_fmac_f32 v13, v17, v8
	v_mul_f32_e32 v41, v24, v90
	v_dual_mul_f32 v45, v20, v7 :: v_dual_mul_f32 v42, v27, v5
	v_mul_f32_e32 v46, v31, v88
	v_dual_mul_f32 v48, v29, v1 :: v_dual_fmac_f32 v51, v23, v2
	v_mul_f32_e32 v49, v28, v1
	v_mul_f32_e32 v44, v26, v5
	v_dual_mul_f32 v50, v23, v3 :: v_dual_fmac_f32 v53, v33, v85
	v_fmac_f32_e32 v39, v19, v10
	v_fma_f32 v12, v16, v8, -v12
	v_fmac_f32_e32 v47, v31, v87
	v_fma_f32 v17, v24, v89, -v40
	v_mul_f32_e32 v52, v33, v86
	v_fma_f32 v16, v18, v10, -v38
	v_fmac_f32_e32 v41, v25, v89
	v_fma_f32 v19, v20, v6, -v43
	v_sub_f32_e32 v17, v12, v17
	v_fmac_f32_e32 v45, v21, v6
	v_fma_f32 v18, v26, v4, -v42
	v_fma_f32 v20, v30, v87, -v46
	;; [unrolled: 1-line block ×3, first 2 shown]
	v_fmac_f32_e32 v49, v29, v0
	v_dual_fmac_f32 v44, v27, v4 :: v_dual_sub_f32 v25, v13, v41
	v_fma_f32 v22, v22, v2, -v50
	v_fma_f32 v23, v32, v85, -v52
	s_wait_dscnt 0x0
	v_dual_sub_f32 v16, v34, v16 :: v_dual_sub_f32 v19, v36, v19
	v_dual_sub_f32 v24, v35, v39 :: v_dual_sub_f32 v29, v49, v53
	;; [unrolled: 1-line block ×4, first 2 shown]
	s_delay_alu instid0(VALU_DEP_3) | instskip(NEXT) | instid1(VALU_DEP_2)
	v_dual_sub_f32 v22, v14, v22 :: v_dual_add_f32 v43, v24, v17
	v_dual_sub_f32 v28, v15, v51 :: v_dual_add_f32 v47, v26, v20
	v_fma_f32 v30, v34, 2.0, -v16
	v_fma_f32 v31, v35, 2.0, -v24
	;; [unrolled: 1-line block ×7, first 2 shown]
	v_sub_f32_e32 v42, v16, v25
	v_fma_f32 v25, v37, 2.0, -v26
	v_fma_f32 v14, v14, 2.0, -v22
	;; [unrolled: 1-line block ×5, first 2 shown]
	v_dual_sub_f32 v45, v25, v32 :: v_dual_sub_f32 v46, v19, v27
	v_dual_sub_f32 v50, v22, v29 :: v_dual_add_f32 v51, v28, v23
	v_dual_sub_f32 v40, v30, v12 :: v_dual_sub_f32 v41, v31, v13
	s_delay_alu instid0(VALU_DEP_4)
	v_dual_sub_f32 v44, v17, v18 :: v_dual_sub_f32 v49, v15, v21
	v_sub_f32_e32 v48, v14, v20
	v_fma_f32 v38, v16, 2.0, -v42
	v_fma_f32 v39, v24, 2.0, -v43
	;; [unrolled: 1-line block ×12, first 2 shown]
	global_wb scope:SCOPE_SE
	s_wait_kmcnt 0x0
	s_barrier_signal -1
	s_barrier_wait -1
	global_inv scope:SCOPE_SE
	ds_store_2addr_b64 v104, v[40:41], v[42:43] offset0:6 offset1:9
	ds_store_2addr_b64 v104, v[36:37], v[38:39] offset1:3
	ds_store_2addr_b64 v103, v[52:53], v[54:55] offset1:3
	ds_store_2addr_b64 v103, v[44:45], v[46:47] offset0:6 offset1:9
	ds_store_2addr_b64 v101, v[56:57], v[58:59] offset1:3
	ds_store_2addr_b64 v101, v[48:49], v[50:51] offset0:6 offset1:9
	global_wb scope:SCOPE_SE
	s_wait_dscnt 0x0
	s_barrier_signal -1
	s_barrier_wait -1
	global_inv scope:SCOPE_SE
	s_and_saveexec_b32 s0, vcc_lo
	s_cbranch_execz .LBB0_3
; %bb.2:
	ds_load_2addr_b64 v[36:39], v96 offset1:12
	ds_load_2addr_b64 v[40:43], v96 offset0:24 offset1:36
	ds_load_2addr_b64 v[52:55], v96 offset0:48 offset1:60
	;; [unrolled: 1-line block ×5, first 2 shown]
	ds_load_b64 v[93:94], v96 offset:1152
.LBB0_3:
	s_wait_alu 0xfffe
	s_or_b32 exec_lo, exec_lo, s0
	v_add_nc_u32_e32 v12, -12, v95
	s_delay_alu instid0(VALU_DEP_1) | instskip(NEXT) | instid1(VALU_DEP_1)
	v_cndmask_b32_e32 v12, v12, v95, vcc_lo
	v_mul_i32_i24_e32 v13, 0x60, v12
	v_mul_hi_i32_i24_e32 v12, 0x60, v12
	s_delay_alu instid0(VALU_DEP_2) | instskip(SKIP_1) | instid1(VALU_DEP_2)
	v_add_co_u32 v32, s0, s10, v13
	s_wait_alu 0xf1ff
	v_add_co_ci_u32_e64 v33, s0, s11, v12, s0
	s_clause 0x5
	global_load_b128 v[24:27], v[32:33], off offset:72
	global_load_b128 v[20:23], v[32:33], off offset:88
	;; [unrolled: 1-line block ×6, first 2 shown]
	s_wait_loadcnt_dscnt 0x505
	v_dual_mul_f32 v116, v39, v25 :: v_dual_mul_f32 v117, v41, v27
	v_dual_mul_f32 v118, v38, v25 :: v_dual_mul_f32 v115, v40, v27
	s_wait_loadcnt_dscnt 0x1
	v_dual_mul_f32 v128, v57, v19 :: v_dual_mul_f32 v131, v51, v33
	s_wait_dscnt 0x0
	v_mul_f32_e32 v132, v94, v35
	v_dual_mul_f32 v114, v42, v21 :: v_dual_mul_f32 v113, v52, v23
	v_dual_mul_f32 v112, v54, v13 :: v_dual_mul_f32 v111, v44, v15
	;; [unrolled: 1-line block ×4, first 2 shown]
	v_mul_f32_e32 v106, v93, v35
	v_fma_f32 v125, v38, v24, -v116
	v_fma_f32 v124, v40, v26, -v117
	v_fmac_f32_e32 v115, v41, v26
	v_fmac_f32_e32 v105, v51, v32
	v_fma_f32 v117, v56, v18, -v128
	v_fma_f32 v56, v93, v34, -v132
	v_dual_mul_f32 v119, v43, v21 :: v_dual_mul_f32 v120, v53, v23
	v_dual_mul_f32 v127, v47, v17 :: v_dual_mul_f32 v126, v45, v15
	v_mul_f32_e32 v129, v59, v29
	v_dual_mul_f32 v108, v58, v29 :: v_dual_mul_f32 v107, v48, v31
	v_dual_fmac_f32 v118, v39, v24 :: v_dual_fmac_f32 v113, v53, v22
	v_dual_fmac_f32 v114, v43, v20 :: v_dual_fmac_f32 v111, v45, v14
	;; [unrolled: 1-line block ×3, first 2 shown]
	s_delay_alu instid0(VALU_DEP_4)
	v_dual_fmac_f32 v110, v47, v16 :: v_dual_fmac_f32 v107, v49, v30
	v_dual_fmac_f32 v106, v94, v34 :: v_dual_sub_f32 v147, v125, v56
	v_fma_f32 v57, v50, v32, -v131
	v_fma_f32 v123, v42, v20, -v119
	;; [unrolled: 1-line block ×5, first 2 shown]
	v_dual_add_f32 v52, v118, v106 :: v_dual_add_f32 v45, v115, v105
	v_dual_sub_f32 v149, v124, v57 :: v_dual_sub_f32 v130, v111, v110
	v_mul_f32_e32 v145, 0xbeedf032, v147
	v_mul_f32_e32 v121, v55, v13
	v_fma_f32 v120, v44, v14, -v126
	v_dual_fmac_f32 v108, v59, v28 :: v_dual_sub_f32 v139, v118, v106
	v_dual_sub_f32 v141, v115, v105 :: v_dual_sub_f32 v142, v114, v107
	v_add_f32_e32 v44, v123, v58
	v_sub_f32_e32 v151, v123, v58
	v_fma_f32 v39, 0x3f62ad3f, v52, -v145
	v_mul_f32_e32 v144, 0xbf52af12, v149
	v_fma_f32 v121, v54, v12, -v121
	v_fma_f32 v119, v46, v16, -v127
	v_dual_add_f32 v42, v125, v56 :: v_dual_add_f32 v43, v124, v57
	s_delay_alu instid0(VALU_DEP_3)
	v_dual_add_f32 v47, v114, v107 :: v_dual_add_f32 v50, v121, v117
	v_add_f32_e32 v46, v122, v116
	v_dual_sub_f32 v146, v122, v116 :: v_dual_sub_f32 v129, v112, v109
	v_dual_add_f32 v55, v111, v110 :: v_dual_mul_f32 v128, 0xbeedf032, v139
	v_dual_mul_f32 v126, 0xbf7e222b, v142 :: v_dual_mul_f32 v133, 0xbf7e222b, v151
	v_add_f32_e32 v39, v37, v39
	v_fma_f32 v41, 0x3f116cb1, v45, -v144
	v_dual_add_f32 v51, v113, v108 :: v_dual_add_f32 v54, v112, v109
	v_dual_sub_f32 v148, v121, v117 :: v_dual_add_f32 v53, v120, v119
	v_mul_f32_e32 v131, 0xbf6f5d39, v146
	s_delay_alu instid0(VALU_DEP_4)
	v_dual_fmamk_f32 v38, v42, 0x3f62ad3f, v128 :: v_dual_add_f32 v39, v41, v39
	v_mul_f32_e32 v127, 0xbf52af12, v141
	v_fma_f32 v49, 0x3df6dbef, v47, -v133
	v_dual_sub_f32 v143, v113, v108 :: v_dual_sub_f32 v150, v120, v119
	v_dual_mul_f32 v59, 0xbf29c268, v129 :: v_dual_mul_f32 v132, 0xbf29c268, v148
	v_add_f32_e32 v38, v36, v38
	s_delay_alu instid0(VALU_DEP_4) | instskip(SKIP_3) | instid1(VALU_DEP_4)
	v_dual_fmamk_f32 v40, v43, 0x3f116cb1, v127 :: v_dual_add_f32 v39, v49, v39
	v_fma_f32 v41, 0xbeb58ec6, v51, -v131
	v_mul_f32_e32 v93, 0xbf6f5d39, v143
	v_fmamk_f32 v48, v44, 0x3df6dbef, v126
	v_add_f32_e32 v38, v40, v38
	s_delay_alu instid0(VALU_DEP_4) | instskip(SKIP_2) | instid1(VALU_DEP_4)
	v_dual_mul_f32 v134, 0xbe750f2a, v150 :: v_dual_add_f32 v39, v41, v39
	v_fma_f32 v49, 0xbf3f9e67, v54, -v132
	v_mul_f32_e32 v94, 0xbe750f2a, v130
	v_add_f32_e32 v38, v48, v38
	s_delay_alu instid0(VALU_DEP_4) | instskip(NEXT) | instid1(VALU_DEP_4)
	v_fma_f32 v41, 0xbf788fa5, v55, -v134
	v_dual_fmamk_f32 v48, v50, 0xbf3f9e67, v59 :: v_dual_add_f32 v39, v49, v39
	s_delay_alu instid0(VALU_DEP_1) | instskip(NEXT) | instid1(VALU_DEP_1)
	v_dual_fmamk_f32 v40, v46, 0xbeb58ec6, v93 :: v_dual_add_f32 v49, v41, v39
	v_add_f32_e32 v38, v40, v38
	v_fmamk_f32 v40, v53, 0xbf788fa5, v94
	s_delay_alu instid0(VALU_DEP_2) | instskip(NEXT) | instid1(VALU_DEP_1)
	v_add_f32_e32 v38, v48, v38
	v_add_f32_e32 v48, v40, v38
	s_and_saveexec_b32 s0, vcc_lo
	s_cbranch_execz .LBB0_5
; %bb.4:
	v_dual_mul_f32 v158, 0x3df6dbef, v52 :: v_dual_mul_f32 v163, 0x3df6dbef, v47
	v_mul_f32_e32 v168, 0xbf7e222b, v139
	v_mul_f32_e32 v159, 0x3f62ad3f, v47
	v_mul_f32_e32 v171, 0xbe750f2a, v141
	v_mul_f32_e32 v164, 0xbf788fa5, v45
	v_mul_f32_e32 v157, 0xbf3f9e67, v45
	v_dual_fmamk_f32 v40, v42, 0x3df6dbef, v168 :: v_dual_mul_f32 v179, 0x3df6dbef, v51
	v_fmamk_f32 v153, v151, 0xbeedf032, v159
	v_fmamk_f32 v38, v147, 0x3f7e222b, v158
	v_dual_mul_f32 v137, 0xbeb58ec6, v46 :: v_dual_mul_f32 v166, 0xbeb58ec6, v47
	v_mul_f32_e32 v165, 0xbeb58ec6, v51
	v_dual_mul_f32 v135, 0xbf3f9e67, v50 :: v_dual_add_f32 v40, v36, v40
	s_delay_alu instid0(VALU_DEP_4) | instskip(SKIP_3) | instid1(VALU_DEP_4)
	v_dual_add_f32 v38, v37, v38 :: v_dual_fmamk_f32 v41, v43, 0xbf788fa5, v171
	v_dual_mul_f32 v177, 0xbf29c268, v130 :: v_dual_fmamk_f32 v152, v149, 0xbf29c268, v157
	v_fmamk_f32 v39, v149, 0x3e750f2a, v164
	v_dual_mul_f32 v140, 0x3f62ad3f, v42 :: v_dual_mul_f32 v169, 0x3f62ad3f, v51
	v_dual_add_f32 v40, v41, v40 :: v_dual_mul_f32 v173, 0x3f6f5d39, v142
	s_delay_alu instid0(VALU_DEP_3)
	v_add_f32_e32 v38, v39, v38
	v_fmamk_f32 v39, v151, 0xbf6f5d39, v166
	v_mul_f32_e32 v176, 0xbf52af12, v129
	v_mul_f32_e32 v172, 0x3f116cb1, v54
	v_fmamk_f32 v41, v44, 0xbeb58ec6, v173
	v_dual_mul_f32 v167, 0xbf3f9e67, v54 :: v_dual_mul_f32 v174, 0xbf3f9e67, v55
	v_dual_add_f32 v38, v39, v38 :: v_dual_fmamk_f32 v39, v146, 0xbeedf032, v169
	s_delay_alu instid0(VALU_DEP_3) | instskip(SKIP_3) | instid1(VALU_DEP_4)
	v_dual_add_f32 v40, v41, v40 :: v_dual_mul_f32 v175, 0x3eedf032, v143
	v_mul_f32_e32 v160, 0x3f62ad3f, v52
	v_mul_f32_e32 v156, 0xbeb58ec6, v52
	v_dual_mul_f32 v205, 0x3f52af12, v146 :: v_dual_mul_f32 v210, 0x3f52af12, v143
	v_fmamk_f32 v41, v46, 0x3f62ad3f, v175
	v_dual_mul_f32 v136, 0xbf788fa5, v53 :: v_dual_mul_f32 v181, 0xbf788fa5, v54
	v_mul_f32_e32 v180, 0x3f29c268, v141
	s_delay_alu instid0(VALU_DEP_4) | instskip(NEXT) | instid1(VALU_DEP_4)
	v_fma_f32 v211, 0x3f116cb1, v46, -v210
	v_dual_add_f32 v40, v41, v40 :: v_dual_fmamk_f32 v41, v50, 0x3f116cb1, v176
	v_dual_add_f32 v38, v39, v38 :: v_dual_fmamk_f32 v39, v148, 0x3f52af12, v172
	v_mul_f32_e32 v200, 0x3eedf032, v149
	v_mul_f32_e32 v202, 0xbf29c268, v151
	s_delay_alu instid0(VALU_DEP_4) | instskip(NEXT) | instid1(VALU_DEP_4)
	v_add_f32_e32 v40, v41, v40
	v_dual_fmamk_f32 v41, v53, 0xbf3f9e67, v177 :: v_dual_add_f32 v38, v39, v38
	v_fmamk_f32 v39, v150, 0x3f29c268, v174
	v_mul_f32_e32 v138, 0x3df6dbef, v44
	v_fmamk_f32 v201, v45, 0x3f62ad3f, v200
	v_mul_f32_e32 v190, 0xbf788fa5, v51
	s_delay_alu instid0(VALU_DEP_4)
	v_dual_mul_f32 v196, 0x3e750f2a, v143 :: v_dual_add_f32 v39, v39, v38
	v_fmamk_f32 v38, v147, 0x3f6f5d39, v156
	v_mul_f32_e32 v191, 0x3f7e222b, v141
	v_mul_f32_e32 v186, 0x3df6dbef, v45
	;; [unrolled: 1-line block ×3, first 2 shown]
	v_fmamk_f32 v204, v47, 0xbf3f9e67, v202
	s_delay_alu instid0(VALU_DEP_4) | instskip(SKIP_3) | instid1(VALU_DEP_4)
	v_dual_add_f32 v38, v37, v38 :: v_dual_fmamk_f32 v193, v43, 0x3df6dbef, v191
	v_mul_f32_e32 v178, 0xbf6f5d39, v139
	v_mul_f32_e32 v182, 0x3eedf032, v142
	v_fmamk_f32 v198, v46, 0xbf788fa5, v196
	v_add_f32_e32 v152, v152, v38
	v_add_f32_e32 v38, v41, v40
	v_dual_fmamk_f32 v40, v42, 0xbeb58ec6, v178 :: v_dual_mul_f32 v195, 0xbeb58ec6, v55
	v_dual_mul_f32 v184, 0xbf7e222b, v143 :: v_dual_fmamk_f32 v155, v149, 0xbf7e222b, v186
	s_delay_alu instid0(VALU_DEP_4) | instskip(NEXT) | instid1(VALU_DEP_3)
	v_dual_add_f32 v41, v153, v152 :: v_dual_fmamk_f32 v152, v146, 0x3f7e222b, v179
	v_dual_add_f32 v40, v36, v40 :: v_dual_fmamk_f32 v153, v43, 0xbf3f9e67, v180
	v_mul_f32_e32 v183, 0x3f116cb1, v55
	s_delay_alu instid0(VALU_DEP_3) | instskip(SKIP_4) | instid1(VALU_DEP_4)
	v_dual_mul_f32 v188, 0x3f116cb1, v47 :: v_dual_add_f32 v41, v152, v41
	v_fmamk_f32 v152, v148, 0xbe750f2a, v181
	v_mul_f32_e32 v170, 0xbf788fa5, v55
	v_add_f32_e32 v40, v153, v40
	v_add_f32_e32 v118, v37, v118
	v_dual_fmac_f32 v174, 0xbf29c268, v150 :: v_dual_add_f32 v41, v152, v41
	v_fmamk_f32 v152, v150, 0xbf52af12, v183
	s_delay_alu instid0(VALU_DEP_3) | instskip(SKIP_2) | instid1(VALU_DEP_4)
	v_dual_fmac_f32 v164, 0xbe750f2a, v149 :: v_dual_add_f32 v115, v118, v115
	v_fmac_f32_e32 v158, 0xbf7e222b, v147
	v_mul_f32_e32 v203, 0xbe750f2a, v139
	v_dual_add_f32 v41, v152, v41 :: v_dual_fmamk_f32 v152, v147, 0x3f29c268, v154
	v_fma_f32 v168, 0x3df6dbef, v42, -v168
	s_delay_alu instid0(VALU_DEP_4) | instskip(SKIP_1) | instid1(VALU_DEP_4)
	v_add_f32_e32 v158, v37, v158
	v_fmac_f32_e32 v166, 0x3f6f5d39, v151
	v_dual_mul_f32 v199, 0x3eedf032, v129 :: v_dual_add_f32 v152, v37, v152
	v_dual_fmamk_f32 v153, v44, 0x3f62ad3f, v182 :: v_dual_mul_f32 v192, 0x3f62ad3f, v54
	v_dual_add_f32 v168, v36, v168 :: v_dual_fmac_f32 v169, 0x3eedf032, v146
	s_delay_alu instid0(VALU_DEP_3) | instskip(NEXT) | instid1(VALU_DEP_3)
	v_add_f32_e32 v152, v155, v152
	v_dual_add_f32 v40, v153, v40 :: v_dual_fmamk_f32 v153, v46, 0x3df6dbef, v184
	v_mul_f32_e32 v185, 0x3e750f2a, v129
	v_fmamk_f32 v155, v151, 0x3f52af12, v188
	v_dual_mul_f32 v194, 0xbf52af12, v142 :: v_dual_add_f32 v145, v145, v160
	s_delay_alu instid0(VALU_DEP_3) | instskip(NEXT) | instid1(VALU_DEP_3)
	v_dual_add_f32 v40, v153, v40 :: v_dual_fmamk_f32 v153, v50, 0xbf788fa5, v185
	v_dual_add_f32 v152, v155, v152 :: v_dual_mul_f32 v187, 0x3f52af12, v130
	v_fmamk_f32 v155, v146, 0xbe750f2a, v190
	v_dual_mul_f32 v209, 0x3f7e222b, v150 :: v_dual_fmac_f32 v186, 0x3f7e222b, v149
	s_delay_alu instid0(VALU_DEP_4) | instskip(NEXT) | instid1(VALU_DEP_4)
	v_add_f32_e32 v40, v153, v40
	v_fmamk_f32 v153, v53, 0x3f116cb1, v187
	v_mul_f32_e32 v189, 0xbf29c268, v139
	v_dual_mul_f32 v139, 0xbf52af12, v139 :: v_dual_add_f32 v158, v164, v158
	v_add_f32_e32 v152, v155, v152
	s_delay_alu instid0(VALU_DEP_3) | instskip(SKIP_1) | instid1(VALU_DEP_4)
	v_dual_add_f32 v40, v153, v40 :: v_dual_fmamk_f32 v153, v42, 0xbf3f9e67, v189
	v_fmac_f32_e32 v156, 0xbf6f5d39, v147
	v_add_f32_e32 v158, v166, v158
	v_fmac_f32_e32 v154, 0xbf29c268, v147
	v_fmac_f32_e32 v157, 0x3f29c268, v149
	v_add_f32_e32 v153, v36, v153
	v_fma_f32 v171, 0xbf788fa5, v43, -v171
	v_add_f32_e32 v169, v169, v158
	v_dual_fmamk_f32 v155, v148, 0xbeedf032, v192 :: v_dual_add_f32 v154, v37, v154
	s_delay_alu instid0(VALU_DEP_4) | instskip(SKIP_1) | instid1(VALU_DEP_3)
	v_add_f32_e32 v153, v193, v153
	v_fmamk_f32 v193, v44, 0x3f116cb1, v194
	v_dual_mul_f32 v197, 0xbe750f2a, v147 :: v_dual_add_f32 v152, v155, v152
	s_delay_alu instid0(VALU_DEP_4) | instskip(SKIP_1) | instid1(VALU_DEP_4)
	v_add_f32_e32 v154, v186, v154
	v_fmamk_f32 v155, v150, 0x3f6f5d39, v195
	v_add_f32_e32 v193, v193, v153
	v_dual_mul_f32 v149, 0xbf6f5d39, v149 :: v_dual_add_f32 v156, v37, v156
	v_fmac_f32_e32 v179, 0xbf7e222b, v146
	s_delay_alu instid0(VALU_DEP_4) | instskip(NEXT) | instid1(VALU_DEP_4)
	v_dual_add_f32 v153, v155, v152 :: v_dual_fmamk_f32 v152, v52, 0xbf788fa5, v197
	v_add_f32_e32 v155, v198, v193
	v_fmamk_f32 v193, v50, 0x3f62ad3f, v199
	v_dual_fmac_f32 v192, 0x3eedf032, v148 :: v_dual_fmac_f32 v159, 0x3eedf032, v151
	s_delay_alu instid0(VALU_DEP_4)
	v_add_f32_e32 v152, v37, v152
	v_add_f32_e32 v156, v157, v156
	v_dual_add_f32 v168, v171, v168 :: v_dual_add_f32 v125, v36, v125
	v_fma_f32 v171, 0xbeb58ec6, v44, -v173
	v_fmac_f32_e32 v188, 0xbf52af12, v151
	v_fma_f32 v189, 0xbf3f9e67, v42, -v189
	v_dual_add_f32 v156, v159, v156 :: v_dual_mul_f32 v173, 0xbf52af12, v147
	s_delay_alu instid0(VALU_DEP_3) | instskip(SKIP_4) | instid1(VALU_DEP_4)
	v_dual_add_f32 v147, v171, v168 :: v_dual_add_f32 v188, v188, v154
	v_add_f32_e32 v201, v201, v152
	v_dual_mul_f32 v206, 0xbf6f5d39, v148 :: v_dual_fmac_f32 v195, 0xbf6f5d39, v150
	v_add_f32_e32 v189, v36, v189
	v_add_f32_e32 v179, v179, v156
	v_dual_add_f32 v201, v204, v201 :: v_dual_fmamk_f32 v204, v51, 0x3f116cb1, v205
	v_add_f32_e32 v155, v193, v155
	v_fma_f32 v191, 0x3df6dbef, v43, -v191
	v_dual_fmac_f32 v190, 0x3e750f2a, v146 :: v_dual_fmac_f32 v181, 0x3e750f2a, v148
	s_delay_alu instid0(VALU_DEP_4) | instskip(SKIP_1) | instid1(VALU_DEP_3)
	v_dual_add_f32 v201, v204, v201 :: v_dual_fmamk_f32 v204, v54, 0xbeb58ec6, v206
	v_mul_f32_e32 v198, 0xbf6f5d39, v130
	v_dual_add_f32 v188, v190, v188 :: v_dual_fmac_f32 v183, 0x3f52af12, v150
	v_fma_f32 v178, 0xbeb58ec6, v42, -v178
	s_delay_alu instid0(VALU_DEP_4) | instskip(NEXT) | instid1(VALU_DEP_3)
	v_add_f32_e32 v201, v204, v201
	v_dual_fmamk_f32 v193, v53, 0xbeb58ec6, v198 :: v_dual_add_f32 v188, v192, v188
	v_mul_f32_e32 v208, 0xbf29c268, v142
	v_dual_mul_f32 v212, 0xbf6f5d39, v129 :: v_dual_add_f32 v179, v181, v179
	s_delay_alu instid0(VALU_DEP_3) | instskip(SKIP_4) | instid1(VALU_DEP_4)
	v_add_f32_e32 v152, v193, v155
	v_fma_f32 v155, 0xbf788fa5, v42, -v203
	v_mul_f32_e32 v193, 0x3eedf032, v141
	v_dual_add_f32 v157, v195, v188 :: v_dual_add_f32 v178, v36, v178
	v_fmamk_f32 v171, v45, 0xbeb58ec6, v149
	v_add_f32_e32 v155, v36, v155
	s_delay_alu instid0(VALU_DEP_4)
	v_fma_f32 v207, 0x3f62ad3f, v43, -v193
	v_fma_f32 v180, 0xbf3f9e67, v43, -v180
	v_fmamk_f32 v204, v55, 0x3df6dbef, v209
	v_mul_f32_e32 v151, 0xbe750f2a, v151
	v_dual_mul_f32 v161, 0x3f116cb1, v43 :: v_dual_mul_f32 v162, 0x3f116cb1, v45
	v_add_f32_e32 v155, v207, v155
	v_fma_f32 v207, 0xbf3f9e67, v44, -v208
	v_fma_f32 v166, 0x3f116cb1, v53, -v187
	v_fmamk_f32 v168, v52, 0x3f116cb1, v173
	v_add_f32_e32 v144, v144, v162
	s_delay_alu instid0(VALU_DEP_4) | instskip(SKIP_3) | instid1(VALU_DEP_4)
	v_dual_fmac_f32 v172, 0xbf52af12, v148 :: v_dual_add_f32 v207, v207, v155
	v_add_f32_e32 v155, v204, v201
	v_fma_f32 v204, 0xbeb58ec6, v50, -v212
	v_add_f32_e32 v118, v125, v124
	v_dual_add_f32 v168, v37, v168 :: v_dual_add_f32 v201, v211, v207
	v_mul_f32_e32 v207, 0x3f7e222b, v130
	s_delay_alu instid0(VALU_DEP_3) | instskip(SKIP_1) | instid1(VALU_DEP_4)
	v_dual_add_f32 v114, v115, v114 :: v_dual_add_f32 v115, v118, v123
	v_mul_f32_e32 v148, 0x3f7e222b, v148
	v_add_f32_e32 v186, v204, v201
	s_delay_alu instid0(VALU_DEP_4)
	v_fma_f32 v201, 0x3df6dbef, v53, -v207
	v_mul_f32_e32 v143, 0x3f29c268, v143
	v_fmac_f32_e32 v208, 0xbf3f9e67, v44
	v_fmac_f32_e32 v193, 0x3f62ad3f, v43
	;; [unrolled: 1-line block ×3, first 2 shown]
	v_add_f32_e32 v154, v201, v186
	v_add_f32_e32 v186, v191, v189
	v_fma_f32 v189, 0x3f116cb1, v44, -v194
	v_dual_add_f32 v118, v131, v165 :: v_dual_fmac_f32 v203, 0xbf788fa5, v42
	v_mul_f32_e32 v129, 0x3f7e222b, v129
	v_add_f32_e32 v133, v133, v163
	s_delay_alu instid0(VALU_DEP_4) | instskip(SKIP_4) | instid1(VALU_DEP_4)
	v_add_f32_e32 v186, v189, v186
	v_fma_f32 v189, 0xbf788fa5, v46, -v196
	v_mul_f32_e32 v125, 0x3eedf032, v130
	v_fma_f32 v124, 0x3df6dbef, v50, -v129
	v_dual_add_f32 v113, v114, v113 :: v_dual_add_f32 v114, v115, v122
	v_add_f32_e32 v186, v189, v186
	v_fma_f32 v189, 0x3f62ad3f, v50, -v199
	v_sub_f32_e32 v93, v137, v93
	s_delay_alu instid0(VALU_DEP_4) | instskip(SKIP_1) | instid1(VALU_DEP_4)
	v_add_f32_e32 v112, v113, v112
	v_dual_fmac_f32 v212, 0xbeb58ec6, v50 :: v_dual_add_f32 v113, v114, v121
	v_add_f32_e32 v159, v189, v186
	v_fma_f32 v186, 0xbeb58ec6, v53, -v198
	s_delay_alu instid0(VALU_DEP_4) | instskip(NEXT) | instid1(VALU_DEP_4)
	v_dual_add_f32 v112, v112, v111 :: v_dual_fmac_f32 v129, 0x3df6dbef, v50
	v_add_f32_e32 v113, v113, v120
	v_sub_f32_e32 v120, v161, v127
	s_delay_alu instid0(VALU_DEP_4)
	v_dual_add_f32 v156, v186, v159 :: v_dual_add_f32 v159, v180, v178
	v_fma_f32 v178, 0x3f62ad3f, v44, -v182
	v_fma_f32 v180, 0x3df6dbef, v46, -v184
	v_add_f32_e32 v110, v112, v110
	v_mul_f32_e32 v150, 0x3eedf032, v150
	v_add_f32_e32 v112, v113, v119
	v_add_f32_e32 v178, v178, v159
	v_fma_f32 v113, 0xbf788fa5, v52, -v197
	v_add_f32_e32 v109, v110, v109
	v_fma_f32 v52, 0x3f116cb1, v52, -v173
	v_add_f32_e32 v110, v112, v117
	v_add_f32_e32 v164, v180, v178
	v_fma_f32 v178, 0xbf788fa5, v50, -v185
	v_dual_add_f32 v108, v109, v108 :: v_dual_add_f32 v159, v183, v179
	s_delay_alu instid0(VALU_DEP_4) | instskip(NEXT) | instid1(VALU_DEP_3)
	v_add_f32_e32 v109, v110, v116
	v_dual_sub_f32 v59, v135, v59 :: v_dual_add_f32 v164, v178, v164
	v_fmac_f32_e32 v207, 0x3df6dbef, v53
	s_delay_alu instid0(VALU_DEP_3) | instskip(SKIP_1) | instid1(VALU_DEP_4)
	v_dual_add_f32 v107, v108, v107 :: v_dual_add_f32 v58, v109, v58
	v_fma_f32 v109, 0x3f116cb1, v51, -v205
	v_add_f32_e32 v158, v166, v164
	v_fma_f32 v164, 0x3f62ad3f, v46, -v175
	v_add_f32_e32 v166, v172, v169
	v_fma_f32 v169, 0x3f116cb1, v50, -v176
	v_mul_f32_e32 v172, 0xbf6f5d39, v141
	v_add_f32_e32 v58, v58, v57
	s_delay_alu instid0(VALU_DEP_4) | instskip(SKIP_3) | instid1(VALU_DEP_4)
	v_dual_add_f32 v164, v164, v147 :: v_dual_add_f32 v147, v174, v166
	v_add_f32_e32 v166, v171, v168
	v_fmamk_f32 v168, v47, 0xbf788fa5, v151
	v_fma_f32 v171, 0x3f116cb1, v42, -v139
	v_dual_add_f32 v164, v169, v164 :: v_dual_mul_f32 v169, 0x3f29c268, v146
	v_mul_f32_e32 v174, 0xbe750f2a, v142
	s_delay_alu instid0(VALU_DEP_4) | instskip(NEXT) | instid1(VALU_DEP_4)
	v_add_f32_e32 v141, v168, v166
	v_add_f32_e32 v168, v36, v171
	v_fmamk_f32 v142, v54, 0x3df6dbef, v148
	v_fmamk_f32 v166, v51, 0xbf3f9e67, v169
	v_fma_f32 v171, 0xbeb58ec6, v43, -v172
	v_dual_fmac_f32 v139, 0x3f116cb1, v42 :: v_dual_add_f32 v42, v36, v203
	v_fma_f32 v146, 0xbf3f9e67, v53, -v177
	s_delay_alu instid0(VALU_DEP_3) | instskip(SKIP_1) | instid1(VALU_DEP_2)
	v_dual_add_f32 v141, v166, v141 :: v_dual_add_f32 v166, v171, v168
	v_add_f32_e32 v56, v58, v56
	v_dual_add_f32 v42, v193, v42 :: v_dual_add_f32 v141, v142, v141
	v_fmamk_f32 v142, v55, 0x3f62ad3f, v150
	s_delay_alu instid0(VALU_DEP_2) | instskip(NEXT) | instid1(VALU_DEP_2)
	v_add_f32_e32 v42, v208, v42
	v_add_f32_e32 v142, v142, v141
	s_delay_alu instid0(VALU_DEP_2) | instskip(NEXT) | instid1(VALU_DEP_1)
	v_dual_add_f32 v141, v37, v145 :: v_dual_add_f32 v42, v210, v42
	v_add_f32_e32 v141, v144, v141
	s_delay_alu instid0(VALU_DEP_2) | instskip(NEXT) | instid1(VALU_DEP_2)
	v_add_f32_e32 v42, v212, v42
	v_add_f32_e32 v130, v133, v141
	s_delay_alu instid0(VALU_DEP_1) | instskip(NEXT) | instid1(VALU_DEP_1)
	v_dual_add_f32 v115, v118, v130 :: v_dual_add_f32 v118, v132, v167
	v_add_f32_e32 v115, v118, v115
	v_add_f32_e32 v118, v134, v170
	s_delay_alu instid0(VALU_DEP_1) | instskip(SKIP_4) | instid1(VALU_DEP_4)
	v_add_f32_e32 v111, v118, v115
	v_fma_f32 v168, 0xbf788fa5, v44, -v174
	v_dual_sub_f32 v115, v138, v126 :: v_dual_fmac_f32 v174, 0xbf788fa5, v44
	v_fma_f32 v44, 0x3f62ad3f, v55, -v150
	v_add_f32_e32 v112, v37, v113
	v_add_f32_e32 v160, v168, v166
	v_fma_f32 v166, 0xbf3f9e67, v46, -v143
	v_fma_f32 v113, 0x3f62ad3f, v45, -v200
	v_add_f32_e32 v37, v37, v52
	v_fma_f32 v45, 0xbeb58ec6, v45, -v149
	v_sub_f32_e32 v114, v140, v128
	v_add_f32_e32 v145, v166, v160
	v_fmac_f32_e32 v143, 0xbf3f9e67, v46
	v_lshl_add_u32 v46, v95, 3, v97
	s_delay_alu instid0(VALU_DEP_4) | instskip(NEXT) | instid1(VALU_DEP_4)
	v_dual_add_f32 v37, v45, v37 :: v_dual_add_f32 v114, v36, v114
	v_add_f32_e32 v123, v124, v145
	v_fma_f32 v124, 0x3f62ad3f, v53, -v125
	v_dual_add_f32 v36, v36, v139 :: v_dual_fmac_f32 v125, 0x3f62ad3f, v53
	s_delay_alu instid0(VALU_DEP_2) | instskip(SKIP_2) | instid1(VALU_DEP_1)
	v_add_f32_e32 v141, v124, v123
	v_fmac_f32_e32 v172, 0xbeb58ec6, v43
	v_fma_f32 v43, 0xbf788fa5, v47, -v151
	v_dual_add_f32 v36, v172, v36 :: v_dual_add_f32 v37, v43, v37
	v_fma_f32 v43, 0xbf3f9e67, v51, -v169
	s_delay_alu instid0(VALU_DEP_1) | instskip(SKIP_1) | instid1(VALU_DEP_2)
	v_dual_add_f32 v36, v174, v36 :: v_dual_add_f32 v37, v43, v37
	v_fma_f32 v43, 0x3df6dbef, v54, -v148
	v_add_f32_e32 v36, v143, v36
	s_delay_alu instid0(VALU_DEP_2) | instskip(NEXT) | instid1(VALU_DEP_1)
	v_dual_add_f32 v114, v120, v114 :: v_dual_add_f32 v43, v43, v37
	v_dual_add_f32 v45, v129, v36 :: v_dual_add_f32 v114, v115, v114
	s_delay_alu instid0(VALU_DEP_2) | instskip(SKIP_2) | instid1(VALU_DEP_4)
	v_dual_add_f32 v146, v146, v164 :: v_dual_add_f32 v43, v44, v43
	v_add_f32_e32 v110, v113, v112
	v_fma_f32 v112, 0xbf3f9e67, v47, -v202
	v_add_f32_e32 v93, v93, v114
	v_add_f32_e32 v36, v207, v42
	;; [unrolled: 1-line block ×3, first 2 shown]
	s_delay_alu instid0(VALU_DEP_3) | instskip(SKIP_2) | instid1(VALU_DEP_3)
	v_dual_add_f32 v108, v112, v110 :: v_dual_add_f32 v59, v59, v93
	v_dual_sub_f32 v93, v136, v94 :: v_dual_add_f32 v94, v107, v105
	v_fma_f32 v107, 0xbeb58ec6, v54, -v206
	v_add_f32_e32 v105, v109, v108
	s_delay_alu instid0(VALU_DEP_3) | instskip(SKIP_1) | instid1(VALU_DEP_3)
	v_add_f32_e32 v110, v93, v59
	v_fma_f32 v59, 0x3df6dbef, v55, -v209
	v_dual_add_f32 v57, v94, v106 :: v_dual_add_f32 v58, v107, v105
	s_delay_alu instid0(VALU_DEP_1)
	v_add_f32_e32 v37, v59, v58
	ds_store_b64 v96, v[56:57]
	ds_store_2addr_b64 v46, v[110:111], v[141:142] offset0:12 offset1:24
	ds_store_2addr_b64 v46, v[146:147], v[158:159] offset0:36 offset1:48
	;; [unrolled: 1-line block ×6, first 2 shown]
.LBB0_5:
	s_wait_alu 0xfffe
	s_or_b32 exec_lo, exec_lo, s0
	global_wb scope:SCOPE_SE
	s_wait_dscnt 0x0
	s_barrier_signal -1
	s_barrier_wait -1
	global_inv scope:SCOPE_SE
	global_load_b64 v[58:59], v[91:92], off offset:1248
	v_lshlrev_b32_e32 v36, 3, v95
	s_add_nc_u64 s[0:1], s[8:9], 0x4e0
	s_clause 0xa
	global_load_b64 v[105:106], v36, s[0:1] offset:416
	global_load_b64 v[107:108], v36, s[0:1] offset:832
	;; [unrolled: 1-line block ×11, first 2 shown]
	ds_load_2addr_b64 v[36:39], v96 offset1:13
	ds_load_2addr_b64 v[40:43], v96 offset0:52 offset1:65
	ds_load_2addr_b64 v[44:47], v96 offset0:104 offset1:117
	ds_load_2addr_b64 v[50:53], v96 offset0:26 offset1:39
	ds_load_2addr_b64 v[54:57], v96 offset0:78 offset1:91
	ds_load_2addr_b64 v[91:94], v96 offset0:130 offset1:143
	s_wait_loadcnt_dscnt 0x805
	v_mul_f32_e32 v129, v39, v110
	s_wait_loadcnt_dscnt 0x704
	v_dual_mul_f32 v130, v43, v112 :: v_dual_mul_f32 v127, v37, v59
	v_mul_f32_e32 v128, v36, v59
	s_wait_dscnt 0x3
	v_mul_f32_e32 v59, v44, v108
	s_wait_loadcnt 0x6
	v_mul_f32_e32 v131, v47, v114
	s_wait_loadcnt_dscnt 0x502
	v_mul_f32_e32 v132, v51, v116
	v_fma_f32 v127, v36, v58, -v127
	v_fmac_f32_e32 v128, v37, v58
	v_mul_f32_e32 v36, v41, v106
	v_mul_f32_e32 v37, v40, v106
	;; [unrolled: 1-line block ×4, first 2 shown]
	s_wait_loadcnt_dscnt 0x401
	v_dual_mul_f32 v108, v42, v112 :: v_dual_mul_f32 v133, v55, v118
	v_dual_mul_f32 v110, v46, v114 :: v_dual_fmac_f32 v37, v41, v105
	v_mul_f32_e32 v112, v50, v116
	v_mul_f32_e32 v114, v54, v118
	s_wait_loadcnt 0x2
	v_mul_f32_e32 v135, v53, v122
	v_mul_f32_e32 v118, v52, v122
	s_wait_dscnt 0x0
	v_mul_f32_e32 v134, v92, v120
	v_mul_f32_e32 v116, v91, v120
	s_wait_loadcnt 0x1
	v_mul_f32_e32 v136, v57, v124
	v_mul_f32_e32 v120, v56, v124
	s_wait_loadcnt 0x0
	v_mul_f32_e32 v124, v94, v126
	v_mul_f32_e32 v122, v93, v126
	v_fma_f32 v36, v40, v105, -v36
	v_fma_f32 v105, v38, v109, -v129
	v_fmac_f32_e32 v106, v39, v109
	v_fma_f32 v58, v44, v107, -v58
	v_fmac_f32_e32 v59, v45, v107
	;; [unrolled: 2-line block ×10, first 2 shown]
	ds_store_2addr_b64 v96, v[127:128], v[105:106] offset1:13
	ds_store_2addr_b64 v96, v[36:37], v[107:108] offset0:52 offset1:65
	ds_store_2addr_b64 v96, v[58:59], v[109:110] offset0:104 offset1:117
	;; [unrolled: 1-line block ×5, first 2 shown]
	global_wb scope:SCOPE_SE
	s_wait_dscnt 0x0
	s_barrier_signal -1
	s_barrier_wait -1
	global_inv scope:SCOPE_SE
	ds_load_2addr_b64 v[36:39], v96 offset1:13
	ds_load_2addr_b64 v[40:43], v96 offset0:52 offset1:65
	ds_load_2addr_b64 v[44:47], v96 offset0:104 offset1:117
	;; [unrolled: 1-line block ×5, first 2 shown]
	global_wb scope:SCOPE_SE
	s_wait_dscnt 0x0
	s_barrier_signal -1
	s_barrier_wait -1
	global_inv scope:SCOPE_SE
	v_add_f32_e32 v109, v38, v42
	v_add_f32_e32 v113, v43, v47
	v_dual_add_f32 v59, v40, v44 :: v_dual_add_f32 v118, v51, v55
	v_sub_f32_e32 v117, v55, v92
	v_add_f32_e32 v55, v55, v92
	v_sub_f32_e32 v119, v54, v91
	v_sub_f32_e32 v114, v42, v46
	v_dual_add_f32 v112, v39, v43 :: v_dual_sub_f32 v121, v57, v94
	v_add_f32_e32 v122, v53, v57
	v_add_f32_e32 v57, v57, v94
	v_fmac_f32_e32 v39, -0.5, v113
	v_add_f32_e32 v120, v56, v93
	v_dual_add_f32 v107, v41, v45 :: v_dual_add_f32 v58, v36, v40
	s_delay_alu instid0(VALU_DEP_4) | instskip(NEXT) | instid1(VALU_DEP_4)
	v_dual_fmac_f32 v53, -0.5, v57 :: v_dual_sub_f32 v108, v40, v44
	v_fmamk_f32 v57, v114, 0x3f5db3d7, v39
	v_sub_f32_e32 v111, v43, v47
	v_fmac_f32_e32 v39, 0xbf5db3d7, v114
	v_add_f32_e32 v43, v112, v47
	v_fma_f32 v47, -0.5, v55, v51
	v_add_f32_e32 v110, v42, v46
	v_add_f32_e32 v115, v50, v54
	v_dual_add_f32 v116, v54, v91 :: v_dual_sub_f32 v123, v56, v93
	v_add_f32_e32 v54, v52, v56
	v_fma_f32 v52, -0.5, v120, v52
	v_sub_f32_e32 v105, v41, v45
	v_add_f32_e32 v106, v37, v41
	v_fma_f32 v36, -0.5, v59, v36
	v_fma_f32 v37, -0.5, v107, v37
	v_fmamk_f32 v59, v119, 0x3f5db3d7, v47
	v_fma_f32 v38, -0.5, v110, v38
	v_add_f32_e32 v40, v58, v44
	v_add_f32_e32 v42, v109, v46
	v_dual_add_f32 v44, v115, v91 :: v_dual_fmamk_f32 v91, v121, 0xbf5db3d7, v52
	v_fma_f32 v46, -0.5, v116, v50
	v_fmamk_f32 v55, v108, 0x3f5db3d7, v37
	v_fmac_f32_e32 v37, 0xbf5db3d7, v108
	v_add_f32_e32 v41, v106, v45
	v_dual_add_f32 v45, v118, v92 :: v_dual_fmamk_f32 v92, v123, 0x3f5db3d7, v53
	v_dual_fmac_f32 v53, 0xbf5db3d7, v123 :: v_dual_add_f32 v50, v54, v93
	v_fmamk_f32 v54, v105, 0xbf5db3d7, v36
	v_fmac_f32_e32 v36, 0x3f5db3d7, v105
	v_fmamk_f32 v56, v111, 0xbf5db3d7, v38
	v_dual_fmac_f32 v38, 0x3f5db3d7, v111 :: v_dual_add_f32 v51, v122, v94
	v_fmamk_f32 v58, v117, 0xbf5db3d7, v46
	v_fmac_f32_e32 v46, 0x3f5db3d7, v117
	v_fmac_f32_e32 v47, 0xbf5db3d7, v119
	;; [unrolled: 1-line block ×3, first 2 shown]
	ds_store_2addr_b64 v100, v[40:41], v[54:55] offset1:1
	ds_store_b64 v100, v[36:37] offset:16
	ds_store_2addr_b64 v99, v[42:43], v[56:57] offset1:1
	ds_store_b64 v99, v[38:39] offset:16
	ds_store_2addr_b64 v98, v[44:45], v[58:59] offset1:1
	ds_store_b64 v98, v[46:47] offset:16
	ds_store_2addr_b64 v102, v[50:51], v[91:92] offset1:1
	ds_store_b64 v102, v[52:53] offset:16
	global_wb scope:SCOPE_SE
	s_wait_dscnt 0x0
	s_barrier_signal -1
	s_barrier_wait -1
	global_inv scope:SCOPE_SE
	ds_load_2addr_b64 v[36:39], v96 offset0:26 offset1:39
	ds_load_2addr_b64 v[40:43], v96 offset0:78 offset1:91
	;; [unrolled: 1-line block ×5, first 2 shown]
	ds_load_2addr_b64 v[91:94], v96 offset1:13
	global_wb scope:SCOPE_SE
	s_wait_dscnt 0x0
	s_barrier_signal -1
	s_barrier_wait -1
	global_inv scope:SCOPE_SE
	v_dual_mul_f32 v58, v9, v39 :: v_dual_mul_f32 v59, v11, v41
	v_dual_mul_f32 v106, v3, v45 :: v_dual_mul_f32 v99, v5, v51
	v_mul_f32_e32 v5, v5, v50
	v_mul_f32_e32 v105, v1, v53
	;; [unrolled: 1-line block ×3, first 2 shown]
	s_delay_alu instid0(VALU_DEP_4)
	v_fmac_f32_e32 v106, v2, v44
	v_mul_f32_e32 v100, v7, v43
	v_mul_f32_e32 v7, v7, v42
	;; [unrolled: 1-line block ×3, first 2 shown]
	v_fmac_f32_e32 v99, v4, v50
	v_fma_f32 v4, v4, v51, -v5
	v_mul_f32_e32 v9, v9, v38
	v_fma_f32 v5, v6, v43, -v7
	v_mul_f32_e32 v11, v11, v40
	v_fmac_f32_e32 v59, v10, v40
	v_fmac_f32_e32 v105, v0, v52
	v_fma_f32 v0, v0, v53, -v1
	v_fma_f32 v1, v2, v45, -v3
	v_mul_f32_e32 v102, v88, v55
	v_sub_f32_e32 v40, v94, v5
	v_dual_mul_f32 v107, v86, v57 :: v_dual_fmac_f32 v58, v8, v38
	v_fma_f32 v8, v8, v39, -v9
	v_fma_f32 v9, v10, v41, -v11
	v_sub_f32_e32 v41, v36, v106
	v_dual_sub_f32 v1, v37, v1 :: v_dual_fmac_f32 v102, v87, v54
	v_mul_f32_e32 v86, v86, v56
	v_fma_f32 v53, v94, 2.0, -v40
	v_fmac_f32_e32 v100, v6, v42
	v_mul_f32_e32 v98, v90, v47
	v_dual_mul_f32 v90, v90, v46 :: v_dual_sub_f32 v3, v91, v59
	v_sub_f32_e32 v5, v99, v102
	v_fma_f32 v2, v85, v57, -v86
	v_sub_f32_e32 v11, v93, v100
	v_fmac_f32_e32 v98, v89, v46
	v_fma_f32 v10, v89, v47, -v90
	v_sub_f32_e32 v9, v92, v9
	v_dual_sub_f32 v2, v0, v2 :: v_dual_fmac_f32 v107, v85, v56
	s_delay_alu instid0(VALU_DEP_4) | instskip(SKIP_1) | instid1(VALU_DEP_4)
	v_sub_f32_e32 v7, v58, v98
	v_mul_f32_e32 v88, v88, v54
	v_fma_f32 v51, v92, 2.0, -v9
	s_delay_alu instid0(VALU_DEP_4)
	v_fma_f32 v0, v0, 2.0, -v2
	v_sub_f32_e32 v42, v105, v107
	v_sub_f32_e32 v39, v9, v7
	v_fma_f32 v6, v87, v55, -v88
	v_fma_f32 v55, v37, 2.0, -v1
	v_sub_f32_e32 v10, v8, v10
	v_fma_f32 v50, v91, 2.0, -v3
	v_fma_f32 v52, v93, 2.0, -v11
	v_sub_f32_e32 v6, v4, v6
	v_fma_f32 v54, v36, 2.0, -v41
	v_fma_f32 v8, v8, 2.0, -v10
	v_add_f32_e32 v38, v3, v10
	v_fma_f32 v10, v99, 2.0, -v5
	v_fma_f32 v44, v4, 2.0, -v6
	;; [unrolled: 1-line block ×3, first 2 shown]
	v_sub_f32_e32 v37, v51, v8
	v_fma_f32 v43, v58, 2.0, -v7
	v_dual_add_f32 v6, v11, v6 :: v_dual_sub_f32 v7, v40, v5
	v_add_f32_e32 v46, v41, v2
	s_delay_alu instid0(VALU_DEP_3)
	v_dual_sub_f32 v47, v1, v42 :: v_dual_sub_f32 v36, v50, v43
	v_dual_sub_f32 v4, v52, v10 :: v_dual_sub_f32 v5, v53, v44
	;; [unrolled: 1-line block ×3, first 2 shown]
	v_fma_f32 v2, v3, 2.0, -v38
	v_fma_f32 v3, v9, 2.0, -v39
	;; [unrolled: 1-line block ×12, first 2 shown]
	ds_store_2addr_b64 v104, v[36:37], v[38:39] offset0:6 offset1:9
	ds_store_2addr_b64 v104, v[0:1], v[2:3] offset1:3
	ds_store_2addr_b64 v103, v[8:9], v[10:11] offset1:3
	ds_store_2addr_b64 v103, v[4:5], v[6:7] offset0:6 offset1:9
	ds_store_2addr_b64 v101, v[40:41], v[42:43] offset1:3
	ds_store_2addr_b64 v101, v[44:45], v[46:47] offset0:6 offset1:9
	global_wb scope:SCOPE_SE
	s_wait_dscnt 0x0
	s_barrier_signal -1
	s_barrier_wait -1
	global_inv scope:SCOPE_SE
	s_and_saveexec_b32 s0, vcc_lo
	s_cbranch_execz .LBB0_7
; %bb.6:
	ds_load_2addr_b64 v[0:3], v96 offset1:12
	ds_load_2addr_b64 v[36:39], v96 offset0:24 offset1:36
	ds_load_2addr_b64 v[8:11], v96 offset0:48 offset1:60
	;; [unrolled: 1-line block ×5, first 2 shown]
	ds_load_b64 v[48:49], v96 offset:1152
.LBB0_7:
	s_wait_alu 0xfffe
	s_or_b32 exec_lo, exec_lo, s0
	s_and_saveexec_b32 s0, vcc_lo
	s_cbranch_execz .LBB0_9
; %bb.8:
	s_wait_dscnt 0x0
	v_dual_mul_f32 v51, v25, v3 :: v_dual_mul_f32 v50, v35, v49
	v_dual_mul_f32 v52, v35, v48 :: v_dual_mul_f32 v25, v25, v2
	v_mul_f32_e32 v35, v33, v47
	s_delay_alu instid0(VALU_DEP_3) | instskip(SKIP_1) | instid1(VALU_DEP_4)
	v_dual_fmac_f32 v51, v24, v2 :: v_dual_fmac_f32 v50, v34, v48
	v_mul_f32_e32 v48, v27, v37
	v_fma_f32 v34, v34, v49, -v52
	v_fma_f32 v49, v24, v3, -v25
	v_dual_mul_f32 v2, v33, v46 :: v_dual_mul_f32 v3, v27, v36
	s_delay_alu instid0(VALU_DEP_4) | instskip(NEXT) | instid1(VALU_DEP_3)
	v_dual_sub_f32 v25, v51, v50 :: v_dual_fmac_f32 v48, v26, v36
	v_dual_fmac_f32 v35, v32, v46 :: v_dual_add_f32 v46, v34, v49
	s_delay_alu instid0(VALU_DEP_2) | instskip(NEXT) | instid1(VALU_DEP_2)
	v_dual_mul_f32 v33, v21, v39 :: v_dual_mul_f32 v52, 0xbf7e222b, v25
	v_dual_mul_f32 v27, v31, v45 :: v_dual_sub_f32 v24, v48, v35
	v_fma_f32 v32, v32, v47, -v2
	v_fma_f32 v36, v26, v37, -v3
	s_delay_alu instid0(VALU_DEP_4)
	v_dual_fmamk_f32 v53, v46, 0x3df6dbef, v52 :: v_dual_mul_f32 v2, v31, v44
	v_fmac_f32_e32 v33, v20, v38
	v_fmac_f32_e32 v27, v30, v44
	v_mul_f32_e32 v44, 0xbe750f2a, v24
	v_add_f32_e32 v47, v32, v36
	v_fma_f32 v26, v30, v45, -v2
	v_dual_mul_f32 v30, v23, v9 :: v_dual_mul_f32 v3, v21, v38
	v_add_f32_e32 v2, v1, v53
	v_dual_mul_f32 v37, v29, v42 :: v_dual_mul_f32 v38, v23, v8
	v_mul_f32_e32 v23, v19, v41
	s_delay_alu instid0(VALU_DEP_4) | instskip(SKIP_2) | instid1(VALU_DEP_3)
	v_fma_f32 v31, v20, v39, -v3
	v_dual_fmamk_f32 v3, v47, 0xbf788fa5, v44 :: v_dual_mul_f32 v20, v29, v43
	v_dual_sub_f32 v21, v33, v27 :: v_dual_fmac_f32 v30, v22, v8
	v_add_f32_e32 v54, v26, v31
	s_delay_alu instid0(VALU_DEP_3) | instskip(NEXT) | instid1(VALU_DEP_3)
	v_add_f32_e32 v2, v3, v2
	v_dual_fmac_f32 v20, v28, v42 :: v_dual_mul_f32 v53, 0x3f6f5d39, v21
	v_mul_f32_e32 v29, v13, v11
	v_fma_f32 v28, v28, v43, -v37
	v_fma_f32 v37, v22, v9, -v38
	s_delay_alu instid0(VALU_DEP_4)
	v_sub_f32_e32 v8, v30, v20
	v_fmamk_f32 v3, v54, 0xbeb58ec6, v53
	v_dual_fmac_f32 v29, v12, v10 :: v_dual_mul_f32 v22, v15, v5
	v_dual_mul_f32 v19, v19, v40 :: v_dual_sub_f32 v58, v49, v34
	v_dual_mul_f32 v10, v13, v10 :: v_dual_fmac_f32 v23, v18, v40
	v_dual_add_f32 v56, v28, v37 :: v_dual_mul_f32 v55, 0x3eedf032, v8
	v_add_f32_e32 v2, v3, v2
	s_delay_alu instid0(VALU_DEP_4) | instskip(NEXT) | instid1(VALU_DEP_4)
	v_fma_f32 v18, v18, v41, -v19
	v_fma_f32 v38, v12, v11, -v10
	s_delay_alu instid0(VALU_DEP_4) | instskip(SKIP_2) | instid1(VALU_DEP_4)
	v_dual_fmac_f32 v22, v14, v4 :: v_dual_fmamk_f32 v3, v56, 0x3f62ad3f, v55
	v_sub_f32_e32 v9, v29, v23
	v_dual_mul_f32 v19, v17, v7 :: v_dual_add_f32 v12, v35, v48
	v_dual_add_f32 v39, v18, v38 :: v_dual_mul_f32 v4, v15, v4
	s_delay_alu instid0(VALU_DEP_3) | instskip(SKIP_2) | instid1(VALU_DEP_4)
	v_dual_add_f32 v2, v3, v2 :: v_dual_mul_f32 v57, 0xbf52af12, v9
	v_mul_f32_e32 v59, 0xbf7e222b, v58
	v_mul_f32_e32 v42, 0xbf6f5d39, v25
	v_fma_f32 v88, v14, v5, -v4
	v_fmac_f32_e32 v19, v16, v6
	v_fmamk_f32 v3, v39, 0x3f116cb1, v57
	v_dual_sub_f32 v85, v36, v32 :: v_dual_sub_f32 v94, v38, v18
	v_add_f32_e32 v14, v20, v30
	s_delay_alu instid0(VALU_DEP_4) | instskip(NEXT) | instid1(VALU_DEP_4)
	v_sub_f32_e32 v10, v22, v19
	v_add_f32_e32 v2, v3, v2
	v_mul_f32_e32 v3, v17, v6
	v_dual_add_f32 v11, v50, v51 :: v_dual_mul_f32 v102, 0xbf7e222b, v8
	s_delay_alu instid0(VALU_DEP_4) | instskip(SKIP_1) | instid1(VALU_DEP_4)
	v_mul_f32_e32 v90, 0xbf29c268, v10
	v_mul_f32_e32 v17, 0xbe750f2a, v85
	v_fma_f32 v86, v16, v7, -v3
	s_delay_alu instid0(VALU_DEP_4) | instskip(SKIP_1) | instid1(VALU_DEP_4)
	v_fma_f32 v6, 0x3df6dbef, v11, -v59
	v_dual_add_f32 v13, v27, v33 :: v_dual_mul_f32 v98, 0xbf52af12, v94
	v_fma_f32 v4, 0xbf788fa5, v12, -v17
	s_delay_alu instid0(VALU_DEP_4) | instskip(SKIP_3) | instid1(VALU_DEP_4)
	v_sub_f32_e32 v99, v88, v86
	v_sub_f32_e32 v91, v37, v28
	v_dual_add_f32 v3, v0, v6 :: v_dual_add_f32 v92, v86, v88
	v_mul_f32_e32 v43, 0x3f29c268, v24
	v_mul_f32_e32 v100, 0xbf29c268, v99
	s_delay_alu instid0(VALU_DEP_4) | instskip(NEXT) | instid1(VALU_DEP_4)
	v_mul_f32_e32 v93, 0x3eedf032, v91
	v_dual_add_f32 v3, v4, v3 :: v_dual_add_f32 v16, v19, v22
	v_fmamk_f32 v5, v92, 0xbf3f9e67, v90
	v_mul_f32_e32 v104, 0x3e750f2a, v9
	s_delay_alu instid0(VALU_DEP_4)
	v_fma_f32 v6, 0x3f62ad3f, v14, -v93
	v_sub_f32_e32 v87, v31, v26
	v_mul_f32_e32 v107, 0xbf7e222b, v91
	v_mul_f32_e32 v40, 0xbf29c268, v25
	;; [unrolled: 1-line block ×5, first 2 shown]
	v_fma_f32 v41, 0x3df6dbef, v14, -v107
	v_mul_f32_e32 v110, 0x3f52af12, v99
	v_dual_mul_f32 v114, 0x3e750f2a, v8 :: v_dual_mul_f32 v119, 0x3e750f2a, v91
	s_delay_alu instid0(VALU_DEP_4) | instskip(SKIP_3) | instid1(VALU_DEP_4)
	v_fma_f32 v4, 0xbeb58ec6, v13, -v89
	v_fma_f32 v116, 0x3df6dbef, v12, -v115
	v_fmamk_f32 v113, v54, 0x3f116cb1, v111
	v_dual_mul_f32 v118, 0xbf6f5d39, v10 :: v_dual_mul_f32 v123, 0xbf6f5d39, v99
	v_dual_add_f32 v4, v4, v3 :: v_dual_add_f32 v3, v5, v2
	v_dual_mul_f32 v121, 0x3eedf032, v94 :: v_dual_mul_f32 v128, 0x3eedf032, v85
	v_fma_f32 v52, 0x3df6dbef, v46, -v52
	s_delay_alu instid0(VALU_DEP_3) | instskip(SKIP_4) | instid1(VALU_DEP_4)
	v_add_f32_e32 v2, v6, v4
	v_fmamk_f32 v4, v46, 0xbeb58ec6, v42
	v_fmamk_f32 v6, v47, 0xbf3f9e67, v43
	v_mul_f32_e32 v105, 0x3eedf032, v87
	v_fmamk_f32 v130, v12, 0x3f62ad3f, v128
	v_dual_mul_f32 v117, 0xbf52af12, v87 :: v_dual_add_f32 v4, v1, v4
	v_fma_f32 v42, 0xbeb58ec6, v46, -v42
	v_fma_f32 v44, 0xbf788fa5, v47, -v44
	v_add_f32_e32 v49, v49, v1
	s_delay_alu instid0(VALU_DEP_4) | instskip(SKIP_4) | instid1(VALU_DEP_4)
	v_dual_fmac_f32 v89, 0xbeb58ec6, v13 :: v_dual_add_f32 v4, v6, v4
	v_mul_f32_e32 v45, 0x3eedf032, v21
	v_dual_add_f32 v15, v23, v29 :: v_dual_mul_f32 v120, 0xbf788fa5, v46
	v_mul_f32_e32 v122, 0x3f62ad3f, v47
	v_add_f32_e32 v36, v36, v49
	v_fmamk_f32 v6, v54, 0x3f62ad3f, v45
	s_delay_alu instid0(VALU_DEP_4) | instskip(SKIP_1) | instid1(VALU_DEP_4)
	v_fma_f32 v5, 0x3f116cb1, v15, -v98
	v_add_f32_e32 v42, v1, v42
	v_dual_fmac_f32 v98, 0x3f116cb1, v15 :: v_dual_add_f32 v31, v31, v36
	s_delay_alu instid0(VALU_DEP_4) | instskip(NEXT) | instid1(VALU_DEP_4)
	v_add_f32_e32 v4, v6, v4
	v_add_f32_e32 v2, v5, v2
	v_fma_f32 v5, 0xbf3f9e67, v16, -v100
	v_fmamk_f32 v6, v56, 0x3df6dbef, v102
	v_mul_f32_e32 v101, 0xbf6f5d39, v58
	v_fma_f32 v45, 0x3f62ad3f, v54, -v45
	v_fmac_f32_e32 v93, 0x3f62ad3f, v14
	v_add_f32_e32 v2, v5, v2
	v_add_f32_e32 v4, v6, v4
	v_fma_f32 v5, 0xbeb58ec6, v11, -v101
	v_fmamk_f32 v6, v39, 0xbf788fa5, v104
	v_mul_f32_e32 v103, 0x3f29c268, v85
	v_fma_f32 v43, 0xbf3f9e67, v47, -v43
	v_fmac_f32_e32 v101, 0xbeb58ec6, v11
	s_delay_alu instid0(VALU_DEP_4) | instskip(NEXT) | instid1(VALU_DEP_4)
	v_dual_add_f32 v5, v0, v5 :: v_dual_add_f32 v4, v6, v4
	v_fma_f32 v7, 0xbf3f9e67, v12, -v103
	v_fmac_f32_e32 v103, 0xbf3f9e67, v12
	s_delay_alu instid0(VALU_DEP_4) | instskip(NEXT) | instid1(VALU_DEP_3)
	v_dual_add_f32 v101, v0, v101 :: v_dual_fmac_f32 v100, 0xbf3f9e67, v16
	v_dual_add_f32 v36, v0, v51 :: v_dual_add_f32 v5, v7, v5
	v_fma_f32 v7, 0x3f62ad3f, v13, -v105
	s_delay_alu instid0(VALU_DEP_3) | instskip(NEXT) | instid1(VALU_DEP_3)
	v_dual_mul_f32 v106, 0x3f52af12, v10 :: v_dual_add_f32 v101, v103, v101
	v_dual_mul_f32 v103, 0xbe750f2a, v87 :: v_dual_add_f32 v36, v48, v36
	s_delay_alu instid0(VALU_DEP_2) | instskip(SKIP_1) | instid1(VALU_DEP_3)
	v_dual_add_f32 v7, v7, v5 :: v_dual_fmamk_f32 v6, v92, 0x3f116cb1, v106
	v_mul_f32_e32 v109, 0x3f7e222b, v24
	v_add_f32_e32 v33, v33, v36
	s_delay_alu instid0(VALU_DEP_3) | instskip(SKIP_1) | instid1(VALU_DEP_4)
	v_add_f32_e32 v5, v6, v4
	v_fmamk_f32 v4, v46, 0xbf3f9e67, v40
	v_dual_add_f32 v6, v41, v7 :: v_dual_fmamk_f32 v41, v47, 0x3df6dbef, v109
	v_fma_f32 v109, 0x3df6dbef, v47, -v109
	v_fma_f32 v104, 0xbf788fa5, v39, -v104
	s_delay_alu instid0(VALU_DEP_4) | instskip(NEXT) | instid1(VALU_DEP_1)
	v_dual_add_f32 v4, v1, v4 :: v_dual_fmac_f32 v105, 0x3f62ad3f, v13
	v_dual_add_f32 v30, v30, v33 :: v_dual_add_f32 v41, v41, v4
	v_mul_f32_e32 v108, 0x3e750f2a, v94
	s_delay_alu instid0(VALU_DEP_1) | instskip(NEXT) | instid1(VALU_DEP_1)
	v_fma_f32 v7, 0xbf788fa5, v15, -v108
	v_add_f32_e32 v6, v7, v6
	v_fma_f32 v7, 0x3f116cb1, v16, -v110
	v_dual_add_f32 v52, v1, v52 :: v_dual_fmac_f32 v107, 0x3df6dbef, v14
	s_delay_alu instid0(VALU_DEP_2)
	v_dual_add_f32 v4, v7, v6 :: v_dual_add_f32 v7, v113, v41
	v_fmamk_f32 v41, v56, 0xbf788fa5, v114
	v_mul_f32_e32 v113, 0x3eedf032, v9
	v_fma_f32 v114, 0xbf788fa5, v56, -v114
	v_add_f32_e32 v44, v44, v52
	v_fma_f32 v52, 0xbeb58ec6, v54, -v53
	v_add_f32_e32 v7, v41, v7
	v_fmamk_f32 v41, v39, 0x3f62ad3f, v113
	v_fma_f32 v40, 0xbf3f9e67, v46, -v40
	v_mul_f32_e32 v131, 0xbf29c268, v87
	v_dual_add_f32 v101, v105, v101 :: v_dual_add_f32 v44, v52, v44
	s_delay_alu instid0(VALU_DEP_4) | instskip(SKIP_2) | instid1(VALU_DEP_4)
	v_add_f32_e32 v7, v41, v7
	v_fmamk_f32 v41, v92, 0xbeb58ec6, v118
	v_mul_f32_e32 v112, 0xbf29c268, v58
	v_dual_add_f32 v40, v1, v40 :: v_dual_add_f32 v53, v107, v101
	v_fmac_f32_e32 v108, 0xbf788fa5, v15
	s_delay_alu instid0(VALU_DEP_4) | instskip(NEXT) | instid1(VALU_DEP_4)
	v_add_f32_e32 v7, v41, v7
	v_fma_f32 v6, 0xbf3f9e67, v11, -v112
	v_fmac_f32_e32 v112, 0xbf3f9e67, v11
	v_fma_f32 v52, 0x3f62ad3f, v56, -v55
	v_fmac_f32_e32 v59, 0x3df6dbef, v11
	v_fma_f32 v55, 0x3f116cb1, v39, -v57
	v_add_f32_e32 v6, v0, v6
	v_add_f32_e32 v112, v0, v112
	;; [unrolled: 1-line block ×4, first 2 shown]
	v_mul_f32_e32 v57, 0x3f116cb1, v46
	v_add_f32_e32 v6, v116, v6
	v_fma_f32 v116, 0x3f116cb1, v13, -v117
	v_add_f32_e32 v52, v55, v52
	v_mul_f32_e32 v108, 0x3eedf032, v99
	v_fmamk_f32 v55, v25, 0x3f52af12, v57
	s_delay_alu instid0(VALU_DEP_4) | instskip(SKIP_4) | instid1(VALU_DEP_4)
	v_dual_fmac_f32 v17, 0xbf788fa5, v12 :: v_dual_add_f32 v6, v116, v6
	v_fma_f32 v116, 0xbf788fa5, v14, -v119
	v_fmac_f32_e32 v115, 0x3df6dbef, v12
	v_fmac_f32_e32 v119, 0xbf788fa5, v14
	v_mul_f32_e32 v105, 0x3f29c268, v91
	v_dual_mul_f32 v101, 0x3df6dbef, v39 :: v_dual_add_f32 v6, v116, v6
	v_fma_f32 v116, 0x3f62ad3f, v15, -v121
	v_dual_fmac_f32 v121, 0x3f62ad3f, v15 :: v_dual_add_f32 v42, v43, v42
	s_delay_alu instid0(VALU_DEP_2)
	v_add_f32_e32 v6, v116, v6
	v_fma_f32 v116, 0xbeb58ec6, v16, -v123
	v_fmamk_f32 v41, v25, 0x3e750f2a, v120
	v_dual_add_f32 v40, v109, v40 :: v_dual_fmac_f32 v117, 0x3f116cb1, v13
	v_fma_f32 v109, 0x3f116cb1, v54, -v111
	v_fmamk_f32 v124, v24, 0xbeedf032, v122
	s_delay_alu instid0(VALU_DEP_4) | instskip(SKIP_1) | instid1(VALU_DEP_4)
	v_dual_add_f32 v6, v116, v6 :: v_dual_add_f32 v41, v1, v41
	v_dual_add_f32 v42, v45, v42 :: v_dual_fmac_f32 v123, 0xbeb58ec6, v16
	v_dual_add_f32 v109, v109, v40 :: v_dual_mul_f32 v126, 0xbe750f2a, v58
	s_delay_alu instid0(VALU_DEP_3) | instskip(SKIP_1) | instid1(VALU_DEP_3)
	v_add_f32_e32 v41, v124, v41
	v_fma_f32 v45, 0x3df6dbef, v56, -v102
	v_dual_fmac_f32 v110, 0x3f116cb1, v16 :: v_dual_add_f32 v109, v114, v109
	s_delay_alu instid0(VALU_DEP_4) | instskip(SKIP_1) | instid1(VALU_DEP_4)
	v_fmamk_f32 v116, v11, 0xbf788fa5, v126
	v_mul_f32_e32 v125, 0xbf3f9e67, v54
	v_add_f32_e32 v45, v45, v42
	s_delay_alu instid0(VALU_DEP_4) | instskip(NEXT) | instid1(VALU_DEP_4)
	v_dual_add_f32 v59, v0, v59 :: v_dual_add_f32 v44, v110, v53
	v_add_f32_e32 v116, v0, v116
	s_delay_alu instid0(VALU_DEP_3) | instskip(SKIP_2) | instid1(VALU_DEP_4)
	v_dual_fmamk_f32 v124, v21, 0x3f29c268, v125 :: v_dual_add_f32 v45, v104, v45
	v_fma_f32 v53, 0xbf3f9e67, v92, -v90
	v_mul_f32_e32 v90, 0xbf52af12, v58
	v_add_f32_e32 v116, v130, v116
	v_fmamk_f32 v130, v13, 0xbf3f9e67, v131
	v_mul_f32_e32 v129, 0xbeb58ec6, v39
	v_add_f32_e32 v41, v124, v41
	v_add_f32_e32 v53, v53, v52
	;; [unrolled: 1-line block ×3, first 2 shown]
	v_dual_add_f32 v116, v130, v116 :: v_dual_mul_f32 v133, 0x3f52af12, v91
	v_mul_f32_e32 v127, 0x3f116cb1, v56
	v_add_f32_e32 v17, v17, v59
	v_mul_f32_e32 v59, 0xbeb58ec6, v47
	v_mul_f32_e32 v104, 0x3f62ad3f, v92
	v_fmamk_f32 v130, v14, 0x3f116cb1, v133
	s_delay_alu instid0(VALU_DEP_4) | instskip(NEXT) | instid1(VALU_DEP_4)
	v_dual_fmamk_f32 v124, v8, 0xbf52af12, v127 :: v_dual_add_f32 v17, v89, v17
	v_fmamk_f32 v55, v24, 0x3f6f5d39, v59
	s_delay_alu instid0(VALU_DEP_3) | instskip(NEXT) | instid1(VALU_DEP_3)
	v_dual_mul_f32 v89, 0xbf788fa5, v54 :: v_dual_add_f32 v116, v130, v116
	v_dual_add_f32 v41, v124, v41 :: v_dual_fmamk_f32 v124, v9, 0x3f6f5d39, v129
	v_mul_f32_e32 v132, 0x3df6dbef, v92
	v_mul_f32_e32 v134, 0xbf6f5d39, v94
	v_dual_mul_f32 v130, 0x3f7e222b, v99 :: v_dual_add_f32 v17, v93, v17
	s_delay_alu instid0(VALU_DEP_3) | instskip(SKIP_2) | instid1(VALU_DEP_4)
	v_dual_add_f32 v41, v124, v41 :: v_dual_fmamk_f32 v124, v10, 0xbf7e222b, v132
	v_fmac_f32_e32 v127, 0x3f52af12, v8
	v_fmac_f32_e32 v125, 0xbf29c268, v21
	v_dual_add_f32 v17, v98, v17 :: v_dual_mul_f32 v98, 0xbf3f9e67, v56
	s_delay_alu instid0(VALU_DEP_4)
	v_dual_add_f32 v41, v124, v41 :: v_dual_fmamk_f32 v124, v15, 0xbeb58ec6, v134
	v_fmac_f32_e32 v129, 0xbf6f5d39, v9
	v_mul_f32_e32 v54, 0x3df6dbef, v54
	v_fmac_f32_e32 v120, 0xbe750f2a, v25
	v_mul_f32_e32 v56, 0xbeb58ec6, v56
	v_add_f32_e32 v111, v124, v116
	v_fmamk_f32 v116, v16, 0x3df6dbef, v130
	v_fmac_f32_e32 v122, 0x3eedf032, v24
	v_mul_f32_e32 v58, 0xbeedf032, v58
	v_fmac_f32_e32 v132, 0x3f7e222b, v10
	s_delay_alu instid0(VALU_DEP_4) | instskip(SKIP_1) | instid1(VALU_DEP_2)
	v_dual_add_f32 v40, v116, v111 :: v_dual_add_f32 v111, v115, v112
	v_fma_f32 v112, 0x3f62ad3f, v39, -v113
	v_add_f32_e32 v111, v117, v111
	s_delay_alu instid0(VALU_DEP_2) | instskip(SKIP_1) | instid1(VALU_DEP_3)
	v_add_f32_e32 v109, v112, v109
	v_fma_f32 v112, 0xbeb58ec6, v92, -v118
	v_add_f32_e32 v111, v119, v111
	s_delay_alu instid0(VALU_DEP_1) | instskip(NEXT) | instid1(VALU_DEP_1)
	v_dual_add_f32 v43, v112, v109 :: v_dual_add_f32 v102, v121, v111
	v_add_f32_e32 v42, v123, v102
	v_fma_f32 v102, 0x3f116cb1, v92, -v106
	v_dual_mul_f32 v106, 0x3f62ad3f, v46 :: v_dual_add_f32 v55, v55, v52
	v_dual_add_f32 v52, v100, v17 :: v_dual_fmamk_f32 v17, v11, 0x3f116cb1, v90
	s_delay_alu instid0(VALU_DEP_3) | instskip(SKIP_2) | instid1(VALU_DEP_4)
	v_add_f32_e32 v45, v102, v45
	v_dual_mul_f32 v100, 0xbf6f5d39, v85 :: v_dual_add_f32 v29, v29, v30
	v_mul_f32_e32 v107, 0x3f116cb1, v47
	v_add_f32_e32 v17, v0, v17
	s_delay_alu instid0(VALU_DEP_3) | instskip(NEXT) | instid1(VALU_DEP_4)
	v_fmamk_f32 v102, v12, 0xbeb58ec6, v100
	v_dual_add_f32 v22, v22, v29 :: v_dual_mul_f32 v29, 0xbf29c268, v94
	v_add_f32_e32 v31, v37, v31
	v_mul_f32_e32 v37, 0xbf52af12, v85
	s_delay_alu instid0(VALU_DEP_4)
	v_dual_add_f32 v17, v102, v17 :: v_dual_fmamk_f32 v102, v13, 0xbf788fa5, v103
	v_fmamk_f32 v93, v21, 0x3e750f2a, v89
	v_add_f32_e32 v19, v19, v22
	v_fmamk_f32 v22, v15, 0xbf3f9e67, v29
	v_fmamk_f32 v49, v16, 0x3f62ad3f, v108
	v_dual_add_f32 v17, v102, v17 :: v_dual_fmamk_f32 v36, v12, 0x3f116cb1, v37
	v_fmamk_f32 v102, v25, 0x3eedf032, v106
	v_add_f32_e32 v55, v93, v55
	v_fmamk_f32 v93, v8, 0xbf29c268, v98
	v_dual_add_f32 v31, v38, v31 :: v_dual_fmac_f32 v98, 0x3f29c268, v8
	v_mul_f32_e32 v38, 0xbf7e222b, v87
	s_delay_alu instid0(VALU_DEP_3) | instskip(SKIP_1) | instid1(VALU_DEP_4)
	v_dual_fmac_f32 v106, 0xbeedf032, v25 :: v_dual_add_f32 v55, v93, v55
	v_fmamk_f32 v93, v9, 0xbf7e222b, v101
	v_add_f32_e32 v31, v88, v31
	s_delay_alu instid0(VALU_DEP_2) | instskip(SKIP_2) | instid1(VALU_DEP_4)
	v_dual_fmac_f32 v89, 0xbe750f2a, v21 :: v_dual_add_f32 v46, v93, v55
	v_fmamk_f32 v55, v10, 0xbeedf032, v104
	v_fmamk_f32 v93, v14, 0xbf3f9e67, v105
	v_dual_add_f32 v31, v86, v31 :: v_dual_fmac_f32 v104, 0x3eedf032, v10
	s_delay_alu instid0(VALU_DEP_3) | instskip(NEXT) | instid1(VALU_DEP_2)
	v_add_f32_e32 v47, v55, v46
	v_dual_mul_f32 v55, 0x3f7e222b, v94 :: v_dual_add_f32 v18, v18, v31
	s_delay_alu instid0(VALU_DEP_4) | instskip(SKIP_1) | instid1(VALU_DEP_3)
	v_add_f32_e32 v17, v93, v17
	v_dual_add_f32 v46, v1, v102 :: v_dual_fmamk_f32 v93, v24, 0x3f52af12, v107
	v_fmamk_f32 v102, v15, 0x3df6dbef, v55
	s_delay_alu instid0(VALU_DEP_4) | instskip(SKIP_1) | instid1(VALU_DEP_4)
	v_add_f32_e32 v18, v28, v18
	v_mul_f32_e32 v28, 0xbe750f2a, v99
	v_dual_mul_f32 v31, 0xbf788fa5, v92 :: v_dual_add_f32 v46, v93, v46
	s_delay_alu instid0(VALU_DEP_3) | instskip(SKIP_1) | instid1(VALU_DEP_2)
	v_dual_fmamk_f32 v93, v21, 0x3f7e222b, v54 :: v_dual_add_f32 v26, v26, v18
	v_dual_add_f32 v17, v102, v17 :: v_dual_fmamk_f32 v102, v8, 0x3f6f5d39, v56
	v_dual_fmac_f32 v54, 0xbf7e222b, v21 :: v_dual_add_f32 v93, v93, v46
	s_delay_alu instid0(VALU_DEP_2) | instskip(NEXT) | instid1(VALU_DEP_4)
	v_dual_add_f32 v19, v23, v19 :: v_dual_add_f32 v46, v49, v17
	v_dual_add_f32 v26, v32, v26 :: v_dual_fmamk_f32 v49, v11, 0x3f62ad3f, v58
	s_delay_alu instid0(VALU_DEP_3) | instskip(NEXT) | instid1(VALU_DEP_3)
	v_add_f32_e32 v17, v102, v93
	v_dual_add_f32 v19, v20, v19 :: v_dual_fmac_f32 v56, 0xbf6f5d39, v8
	s_delay_alu instid0(VALU_DEP_3) | instskip(NEXT) | instid1(VALU_DEP_4)
	v_add_f32_e32 v20, v34, v26
	v_add_f32_e32 v48, v0, v49
	v_fma_f32 v26, 0x3f62ad3f, v12, -v128
	v_mul_f32_e32 v39, 0xbf3f9e67, v39
	v_fmamk_f32 v23, v16, 0xbf788fa5, v28
	v_fmac_f32_e32 v59, 0xbf6f5d39, v24
	v_dual_add_f32 v33, v36, v48 :: v_dual_fmamk_f32 v36, v13, 0x3df6dbef, v38
	v_mul_f32_e32 v48, 0xbf6f5d39, v91
	v_fmamk_f32 v49, v9, 0x3f29c268, v39
	v_fmac_f32_e32 v107, 0xbf52af12, v24
	v_fma_f32 v24, 0xbf788fa5, v13, -v103
	v_fmac_f32_e32 v101, 0x3f7e222b, v9
	v_dual_add_f32 v30, v36, v33 :: v_dual_fmamk_f32 v33, v14, 0xbeb58ec6, v48
	v_add_f32_e32 v17, v49, v17
	v_fma_f32 v8, 0xbeb58ec6, v14, -v48
	s_delay_alu instid0(VALU_DEP_3) | instskip(NEXT) | instid1(VALU_DEP_1)
	v_dual_add_f32 v30, v33, v30 :: v_dual_fmamk_f32 v33, v10, 0x3e750f2a, v31
	v_add_f32_e32 v22, v22, v30
	s_delay_alu instid0(VALU_DEP_1) | instskip(SKIP_1) | instid1(VALU_DEP_1)
	v_dual_add_f32 v18, v33, v17 :: v_dual_add_f32 v17, v23, v22
	v_fma_f32 v22, 0xbf788fa5, v11, -v126
	v_add_f32_e32 v22, v0, v22
	s_delay_alu instid0(VALU_DEP_1) | instskip(SKIP_2) | instid1(VALU_DEP_2)
	v_add_f32_e32 v22, v26, v22
	v_fma_f32 v26, 0xbf3f9e67, v13, -v131
	v_fmac_f32_e32 v39, 0xbf29c268, v9
	v_dual_add_f32 v23, v1, v120 :: v_dual_add_f32 v22, v26, v22
	v_fma_f32 v26, 0x3f116cb1, v14, -v133
	s_delay_alu instid0(VALU_DEP_1) | instskip(SKIP_1) | instid1(VALU_DEP_1)
	v_add_f32_e32 v22, v26, v22
	v_fma_f32 v26, 0xbeb58ec6, v15, -v134
	v_add_f32_e32 v22, v26, v22
	v_fma_f32 v26, 0x3df6dbef, v16, -v130
	s_delay_alu instid0(VALU_DEP_1)
	v_add_f32_e32 v22, v26, v22
	v_fma_f32 v26, 0x3f116cb1, v11, -v90
	v_fma_f32 v11, 0x3f62ad3f, v11, -v58
	v_fmac_f32_e32 v31, 0xbe750f2a, v10
	v_fma_f32 v10, 0xbf788fa5, v16, -v28
	v_fmac_f32_e32 v57, 0xbf52af12, v25
	v_add_f32_e32 v25, v0, v26
	v_add_f32_e32 v0, v0, v11
	v_fma_f32 v11, 0x3f116cb1, v12, -v37
	v_fma_f32 v26, 0xbeb58ec6, v12, -v100
	s_delay_alu instid0(VALU_DEP_2) | instskip(SKIP_1) | instid1(VALU_DEP_3)
	v_add_f32_e32 v0, v11, v0
	v_fma_f32 v11, 0x3df6dbef, v13, -v38
	v_add_f32_e32 v12, v26, v25
	v_fma_f32 v13, 0xbf3f9e67, v14, -v105
	s_delay_alu instid0(VALU_DEP_3) | instskip(NEXT) | instid1(VALU_DEP_3)
	v_add_f32_e32 v0, v11, v0
	v_dual_add_f32 v19, v27, v19 :: v_dual_add_f32 v12, v24, v12
	s_delay_alu instid0(VALU_DEP_2) | instskip(SKIP_1) | instid1(VALU_DEP_3)
	v_add_f32_e32 v0, v8, v0
	v_fma_f32 v8, 0xbf3f9e67, v15, -v29
	v_add_f32_e32 v19, v35, v19
	s_delay_alu instid0(VALU_DEP_4) | instskip(SKIP_2) | instid1(VALU_DEP_4)
	v_add_f32_e32 v11, v13, v12
	v_fma_f32 v12, 0x3df6dbef, v15, -v55
	v_lshl_add_u32 v13, v95, 3, v97
	v_dual_add_f32 v8, v8, v0 :: v_dual_add_f32 v19, v50, v19
	s_delay_alu instid0(VALU_DEP_3) | instskip(SKIP_1) | instid1(VALU_DEP_3)
	v_add_f32_e32 v9, v12, v11
	v_fma_f32 v11, 0x3f62ad3f, v16, -v108
	v_dual_add_f32 v8, v10, v8 :: v_dual_add_f32 v27, v1, v57
	s_delay_alu instid0(VALU_DEP_2) | instskip(NEXT) | instid1(VALU_DEP_2)
	v_dual_add_f32 v1, v1, v106 :: v_dual_add_f32 v0, v11, v9
	v_add_f32_e32 v27, v59, v27
	s_delay_alu instid0(VALU_DEP_2) | instskip(NEXT) | instid1(VALU_DEP_2)
	v_add_f32_e32 v1, v107, v1
	v_add_f32_e32 v27, v89, v27
	s_delay_alu instid0(VALU_DEP_2) | instskip(NEXT) | instid1(VALU_DEP_2)
	v_add_f32_e32 v1, v54, v1
	v_add_f32_e32 v27, v98, v27
	s_delay_alu instid0(VALU_DEP_2) | instskip(NEXT) | instid1(VALU_DEP_1)
	v_add_f32_e32 v1, v56, v1
	v_dual_add_f32 v27, v101, v27 :: v_dual_add_f32 v12, v39, v1
	v_add_f32_e32 v23, v122, v23
	s_delay_alu instid0(VALU_DEP_2) | instskip(NEXT) | instid1(VALU_DEP_3)
	v_add_f32_e32 v1, v104, v27
	v_add_f32_e32 v9, v31, v12
	s_delay_alu instid0(VALU_DEP_3) | instskip(NEXT) | instid1(VALU_DEP_1)
	v_add_f32_e32 v23, v125, v23
	v_add_f32_e32 v23, v127, v23
	s_delay_alu instid0(VALU_DEP_1) | instskip(NEXT) | instid1(VALU_DEP_1)
	v_add_f32_e32 v23, v129, v23
	v_add_f32_e32 v23, v132, v23
	ds_store_b64 v96, v[19:20]
	ds_store_2addr_b64 v13, v[17:18], v[46:47] offset0:12 offset1:24
	ds_store_2addr_b64 v13, v[52:53], v[44:45] offset0:36 offset1:48
	;; [unrolled: 1-line block ×6, first 2 shown]
.LBB0_9:
	s_wait_alu 0xfffe
	s_or_b32 exec_lo, exec_lo, s0
	global_wb scope:SCOPE_SE
	s_wait_dscnt 0x0
	s_barrier_signal -1
	s_barrier_wait -1
	global_inv scope:SCOPE_SE
	ds_load_2addr_b64 v[0:3], v96 offset1:13
	ds_load_2addr_b64 v[4:7], v96 offset0:52 offset1:65
	v_mad_co_u64_u32 v[24:25], null, s6, v60, 0
	v_mad_co_u64_u32 v[26:27], null, s4, v95, 0
	ds_load_2addr_b64 v[8:11], v96 offset0:104 offset1:117
	ds_load_2addr_b64 v[12:15], v96 offset0:26 offset1:39
	;; [unrolled: 1-line block ×4, first 2 shown]
	s_mov_b32 s0, 0x1a41a41a
	s_mov_b32 s1, 0x3f7a41a4
	v_mad_co_u64_u32 v[28:29], null, s7, v60, v[25:26]
	s_wait_dscnt 0x4
	v_dual_mul_f32 v30, v84, v1 :: v_dual_mul_f32 v33, v62, v4
	v_dual_mul_f32 v31, v84, v0 :: v_dual_mul_f32 v36, v78, v3
	s_delay_alu instid0(VALU_DEP_2) | instskip(SKIP_2) | instid1(VALU_DEP_3)
	v_dual_mul_f32 v37, v78, v2 :: v_dual_fmac_f32 v30, v83, v0
	s_wait_dscnt 0x3
	v_mul_f32_e32 v34, v72, v9
	v_fma_f32 v25, v83, v1, -v31
	v_mad_co_u64_u32 v[0:1], null, s5, v95, v[27:28]
	v_mul_f32_e32 v1, v62, v5
	v_cvt_f64_f32_e32 v[29:30], v30
	s_delay_alu instid0(VALU_DEP_4)
	v_cvt_f64_f32_e32 v[31:32], v25
	s_wait_dscnt 0x2
	v_dual_mul_f32 v35, v72, v8 :: v_dual_mul_f32 v42, v74, v13
	s_wait_dscnt 0x1
	v_dual_mul_f32 v40, v68, v11 :: v_dual_mul_f32 v45, v66, v16
	v_fmac_f32_e32 v1, v61, v4
	v_fma_f32 v4, v61, v5, -v33
	v_dual_mul_f32 v38, v64, v7 :: v_dual_mul_f32 v43, v74, v12
	v_dual_mul_f32 v39, v64, v6 :: v_dual_mul_f32 v44, v66, v17
	s_wait_dscnt 0x0
	v_dual_mul_f32 v53, v80, v22 :: v_dual_fmac_f32 v34, v71, v8
	v_dual_mov_b32 v25, v28 :: v_dual_fmac_f32 v36, v77, v2
	v_dual_mov_b32 v27, v0 :: v_dual_fmac_f32 v38, v63, v6
	v_fma_f32 v8, v71, v9, -v35
	v_fma_f32 v33, v77, v3, -v37
	v_fmac_f32_e32 v40, v67, v10
	v_cvt_f64_f32_e32 v[0:1], v1
	v_cvt_f64_f32_e32 v[2:3], v4
	v_fma_f32 v35, v63, v7, -v39
	v_cvt_f64_f32_e32 v[4:5], v34
	v_cvt_f64_f32_e32 v[6:7], v8
	v_dual_mul_f32 v41, v68, v10 :: v_dual_mul_f32 v46, v70, v21
	v_fmac_f32_e32 v42, v73, v12
	v_dual_mul_f32 v47, v70, v20 :: v_dual_mul_f32 v48, v76, v15
	v_dual_mul_f32 v49, v76, v14 :: v_dual_mul_f32 v50, v82, v19
	;; [unrolled: 1-line block ×3, first 2 shown]
	v_fmac_f32_e32 v44, v65, v16
	v_fma_f32 v34, v65, v17, -v45
	v_fmac_f32_e32 v46, v69, v20
	s_wait_alu 0xfffe
	v_mul_f64_e32 v[8:9], s[0:1], v[29:30]
	v_mul_f64_e32 v[28:29], s[0:1], v[31:32]
	v_fma_f32 v30, v67, v11, -v41
	v_cvt_f64_f32_e32 v[10:11], v36
	v_fma_f32 v31, v73, v13, -v43
	v_cvt_f64_f32_e32 v[12:13], v33
	v_fma_f32 v39, v69, v21, -v47
	v_fmac_f32_e32 v48, v75, v14
	v_fma_f32 v43, v75, v15, -v49
	v_fmac_f32_e32 v50, v81, v18
	v_fma_f32 v47, v81, v19, -v51
	v_cvt_f64_f32_e32 v[14:15], v38
	v_cvt_f64_f32_e32 v[16:17], v35
	v_cvt_f64_f32_e32 v[18:19], v40
	v_cvt_f64_f32_e32 v[20:21], v30
	v_fmac_f32_e32 v52, v79, v22
	v_fma_f32 v51, v79, v23, -v53
	v_lshlrev_b64_e32 v[22:23], 3, v[24:25]
	v_cvt_f64_f32_e32 v[24:25], v42
	v_cvt_f64_f32_e32 v[30:31], v31
	;; [unrolled: 1-line block ×12, first 2 shown]
	v_mul_f64_e32 v[0:1], s[0:1], v[0:1]
	v_mul_f64_e32 v[2:3], s[0:1], v[2:3]
	;; [unrolled: 1-line block ×4, first 2 shown]
	v_lshlrev_b64_e32 v[26:27], 3, v[26:27]
	v_add_co_u32 v22, vcc_lo, s2, v22
	s_wait_alu 0xfffd
	v_add_co_ci_u32_e32 v23, vcc_lo, s3, v23, vcc_lo
	v_cvt_f32_f64_e32 v8, v[8:9]
	v_cvt_f32_f64_e32 v9, v[28:29]
	v_mul_f64_e32 v[10:11], s[0:1], v[10:11]
	v_add_co_u32 v22, vcc_lo, v22, v26
	v_mul_f64_e32 v[12:13], s[0:1], v[12:13]
	s_wait_alu 0xfffd
	v_add_co_ci_u32_e32 v23, vcc_lo, v23, v27, vcc_lo
	s_mul_u64 s[2:3], s[4:5], 0x1a0
	v_mul_f64_e32 v[14:15], s[0:1], v[14:15]
	v_mul_f64_e32 v[16:17], s[0:1], v[16:17]
	;; [unrolled: 1-line block ×4, first 2 shown]
	s_wait_alu 0xfffe
	v_add_co_u32 v26, vcc_lo, v22, s2
	s_wait_alu 0xfffd
	v_add_co_ci_u32_e32 v27, vcc_lo, s3, v23, vcc_lo
	v_mul_f64_e32 v[24:25], s[0:1], v[24:25]
	v_mul_f64_e32 v[28:29], s[0:1], v[30:31]
	;; [unrolled: 1-line block ×12, first 2 shown]
	v_cvt_f32_f64_e32 v0, v[0:1]
	v_cvt_f32_f64_e32 v1, v[2:3]
	;; [unrolled: 1-line block ×4, first 2 shown]
	v_add_co_u32 v4, vcc_lo, v26, s2
	s_movk_i32 s0, 0xfd28
	s_mov_b32 s1, -1
	s_wait_alu 0xfffd
	v_add_co_ci_u32_e32 v5, vcc_lo, s3, v27, vcc_lo
	v_cvt_f32_f64_e32 v6, v[10:11]
	s_wait_alu 0xfffe
	s_mul_u64 s[0:1], s[4:5], s[0:1]
	global_store_b64 v[22:23], v[8:9], off
	v_cvt_f32_f64_e32 v7, v[12:13]
	s_wait_alu 0xfffe
	v_add_co_u32 v8, vcc_lo, v4, s0
	s_wait_alu 0xfffd
	v_add_co_ci_u32_e32 v9, vcc_lo, s1, v5, vcc_lo
	v_cvt_f32_f64_e32 v10, v[14:15]
	v_cvt_f32_f64_e32 v11, v[16:17]
	;; [unrolled: 1-line block ×4, first 2 shown]
	v_add_co_u32 v14, vcc_lo, v8, s2
	s_wait_alu 0xfffd
	v_add_co_ci_u32_e32 v15, vcc_lo, s3, v9, vcc_lo
	v_cvt_f32_f64_e32 v16, v[24:25]
	v_cvt_f32_f64_e32 v17, v[28:29]
	;; [unrolled: 1-line block ×12, first 2 shown]
	v_add_co_u32 v30, vcc_lo, v14, s2
	s_wait_alu 0xfffd
	v_add_co_ci_u32_e32 v31, vcc_lo, s3, v15, vcc_lo
	global_store_b64 v[26:27], v[0:1], off
	v_add_co_u32 v0, vcc_lo, v30, s0
	s_wait_alu 0xfffd
	v_add_co_ci_u32_e32 v1, vcc_lo, s1, v31, vcc_lo
	global_store_b64 v[4:5], v[2:3], off
	;; [unrolled: 4-line block ×7, first 2 shown]
	global_store_b64 v[4:5], v[20:21], off
	global_store_b64 v[6:7], v[22:23], off
	;; [unrolled: 1-line block ×4, first 2 shown]
.LBB0_10:
	s_nop 0
	s_sendmsg sendmsg(MSG_DEALLOC_VGPRS)
	s_endpgm
	.section	.rodata,"a",@progbits
	.p2align	6, 0x0
	.amdhsa_kernel bluestein_single_fwd_len156_dim1_sp_op_CI_CI
		.amdhsa_group_segment_fixed_size 11232
		.amdhsa_private_segment_fixed_size 0
		.amdhsa_kernarg_size 104
		.amdhsa_user_sgpr_count 2
		.amdhsa_user_sgpr_dispatch_ptr 0
		.amdhsa_user_sgpr_queue_ptr 0
		.amdhsa_user_sgpr_kernarg_segment_ptr 1
		.amdhsa_user_sgpr_dispatch_id 0
		.amdhsa_user_sgpr_private_segment_size 0
		.amdhsa_wavefront_size32 1
		.amdhsa_uses_dynamic_stack 0
		.amdhsa_enable_private_segment 0
		.amdhsa_system_sgpr_workgroup_id_x 1
		.amdhsa_system_sgpr_workgroup_id_y 0
		.amdhsa_system_sgpr_workgroup_id_z 0
		.amdhsa_system_sgpr_workgroup_info 0
		.amdhsa_system_vgpr_workitem_id 0
		.amdhsa_next_free_vgpr 213
		.amdhsa_next_free_sgpr 20
		.amdhsa_reserve_vcc 1
		.amdhsa_float_round_mode_32 0
		.amdhsa_float_round_mode_16_64 0
		.amdhsa_float_denorm_mode_32 3
		.amdhsa_float_denorm_mode_16_64 3
		.amdhsa_fp16_overflow 0
		.amdhsa_workgroup_processor_mode 1
		.amdhsa_memory_ordered 1
		.amdhsa_forward_progress 0
		.amdhsa_round_robin_scheduling 0
		.amdhsa_exception_fp_ieee_invalid_op 0
		.amdhsa_exception_fp_denorm_src 0
		.amdhsa_exception_fp_ieee_div_zero 0
		.amdhsa_exception_fp_ieee_overflow 0
		.amdhsa_exception_fp_ieee_underflow 0
		.amdhsa_exception_fp_ieee_inexact 0
		.amdhsa_exception_int_div_zero 0
	.end_amdhsa_kernel
	.text
.Lfunc_end0:
	.size	bluestein_single_fwd_len156_dim1_sp_op_CI_CI, .Lfunc_end0-bluestein_single_fwd_len156_dim1_sp_op_CI_CI
                                        ; -- End function
	.section	.AMDGPU.csdata,"",@progbits
; Kernel info:
; codeLenInByte = 12516
; NumSgprs: 22
; NumVgprs: 213
; ScratchSize: 0
; MemoryBound: 0
; FloatMode: 240
; IeeeMode: 1
; LDSByteSize: 11232 bytes/workgroup (compile time only)
; SGPRBlocks: 2
; VGPRBlocks: 26
; NumSGPRsForWavesPerEU: 22
; NumVGPRsForWavesPerEU: 213
; Occupancy: 7
; WaveLimiterHint : 1
; COMPUTE_PGM_RSRC2:SCRATCH_EN: 0
; COMPUTE_PGM_RSRC2:USER_SGPR: 2
; COMPUTE_PGM_RSRC2:TRAP_HANDLER: 0
; COMPUTE_PGM_RSRC2:TGID_X_EN: 1
; COMPUTE_PGM_RSRC2:TGID_Y_EN: 0
; COMPUTE_PGM_RSRC2:TGID_Z_EN: 0
; COMPUTE_PGM_RSRC2:TIDIG_COMP_CNT: 0
	.text
	.p2alignl 7, 3214868480
	.fill 96, 4, 3214868480
	.type	__hip_cuid_bdc4121e2ace4d58,@object ; @__hip_cuid_bdc4121e2ace4d58
	.section	.bss,"aw",@nobits
	.globl	__hip_cuid_bdc4121e2ace4d58
__hip_cuid_bdc4121e2ace4d58:
	.byte	0                               ; 0x0
	.size	__hip_cuid_bdc4121e2ace4d58, 1

	.ident	"AMD clang version 19.0.0git (https://github.com/RadeonOpenCompute/llvm-project roc-6.4.0 25133 c7fe45cf4b819c5991fe208aaa96edf142730f1d)"
	.section	".note.GNU-stack","",@progbits
	.addrsig
	.addrsig_sym __hip_cuid_bdc4121e2ace4d58
	.amdgpu_metadata
---
amdhsa.kernels:
  - .args:
      - .actual_access:  read_only
        .address_space:  global
        .offset:         0
        .size:           8
        .value_kind:     global_buffer
      - .actual_access:  read_only
        .address_space:  global
        .offset:         8
        .size:           8
        .value_kind:     global_buffer
      - .actual_access:  read_only
        .address_space:  global
        .offset:         16
        .size:           8
        .value_kind:     global_buffer
      - .actual_access:  read_only
        .address_space:  global
        .offset:         24
        .size:           8
        .value_kind:     global_buffer
      - .actual_access:  read_only
        .address_space:  global
        .offset:         32
        .size:           8
        .value_kind:     global_buffer
      - .offset:         40
        .size:           8
        .value_kind:     by_value
      - .address_space:  global
        .offset:         48
        .size:           8
        .value_kind:     global_buffer
      - .address_space:  global
        .offset:         56
        .size:           8
        .value_kind:     global_buffer
      - .address_space:  global
        .offset:         64
        .size:           8
        .value_kind:     global_buffer
      - .address_space:  global
        .offset:         72
        .size:           8
        .value_kind:     global_buffer
      - .offset:         80
        .size:           4
        .value_kind:     by_value
      - .address_space:  global
        .offset:         88
        .size:           8
        .value_kind:     global_buffer
      - .address_space:  global
        .offset:         96
        .size:           8
        .value_kind:     global_buffer
    .group_segment_fixed_size: 11232
    .kernarg_segment_align: 8
    .kernarg_segment_size: 104
    .language:       OpenCL C
    .language_version:
      - 2
      - 0
    .max_flat_workgroup_size: 117
    .name:           bluestein_single_fwd_len156_dim1_sp_op_CI_CI
    .private_segment_fixed_size: 0
    .sgpr_count:     22
    .sgpr_spill_count: 0
    .symbol:         bluestein_single_fwd_len156_dim1_sp_op_CI_CI.kd
    .uniform_work_group_size: 1
    .uses_dynamic_stack: false
    .vgpr_count:     213
    .vgpr_spill_count: 0
    .wavefront_size: 32
    .workgroup_processor_mode: 1
amdhsa.target:   amdgcn-amd-amdhsa--gfx1201
amdhsa.version:
  - 1
  - 2
...

	.end_amdgpu_metadata
